;; amdgpu-corpus repo=ROCm/rocFFT kind=compiled arch=gfx906 opt=O3
	.text
	.amdgcn_target "amdgcn-amd-amdhsa--gfx906"
	.amdhsa_code_object_version 6
	.protected	fft_rtc_fwd_len1224_factors_17_3_4_6_wgs_204_tpt_102_halfLds_half_ip_CI_unitstride_sbrr_R2C_dirReg ; -- Begin function fft_rtc_fwd_len1224_factors_17_3_4_6_wgs_204_tpt_102_halfLds_half_ip_CI_unitstride_sbrr_R2C_dirReg
	.globl	fft_rtc_fwd_len1224_factors_17_3_4_6_wgs_204_tpt_102_halfLds_half_ip_CI_unitstride_sbrr_R2C_dirReg
	.p2align	8
	.type	fft_rtc_fwd_len1224_factors_17_3_4_6_wgs_204_tpt_102_halfLds_half_ip_CI_unitstride_sbrr_R2C_dirReg,@function
fft_rtc_fwd_len1224_factors_17_3_4_6_wgs_204_tpt_102_halfLds_half_ip_CI_unitstride_sbrr_R2C_dirReg: ; @fft_rtc_fwd_len1224_factors_17_3_4_6_wgs_204_tpt_102_halfLds_half_ip_CI_unitstride_sbrr_R2C_dirReg
; %bb.0:
	s_load_dwordx2 s[2:3], s[4:5], 0x50
	s_load_dwordx4 s[8:11], s[4:5], 0x0
	s_load_dwordx2 s[12:13], s[4:5], 0x18
	v_mul_u32_u24_e32 v1, 0x283, v0
	v_lshrrev_b32_e32 v9, 16, v1
	v_mov_b32_e32 v3, 0
	s_waitcnt lgkmcnt(0)
	v_cmp_lt_u64_e64 s[0:1], s[10:11], 2
	v_mov_b32_e32 v1, 0
	v_lshl_add_u32 v5, s6, 1, v9
	v_mov_b32_e32 v6, v3
	s_and_b64 vcc, exec, s[0:1]
	v_mov_b32_e32 v2, 0
	s_cbranch_vccnz .LBB0_8
; %bb.1:
	s_load_dwordx2 s[0:1], s[4:5], 0x10
	s_add_u32 s6, s12, 8
	s_addc_u32 s7, s13, 0
	v_mov_b32_e32 v1, 0
	v_mov_b32_e32 v2, 0
	s_waitcnt lgkmcnt(0)
	s_add_u32 s14, s0, 8
	s_addc_u32 s15, s1, 0
	s_mov_b64 s[16:17], 1
.LBB0_2:                                ; =>This Inner Loop Header: Depth=1
	s_load_dwordx2 s[18:19], s[14:15], 0x0
                                        ; implicit-def: $vgpr7_vgpr8
	s_waitcnt lgkmcnt(0)
	v_or_b32_e32 v4, s19, v6
	v_cmp_ne_u64_e32 vcc, 0, v[3:4]
	s_and_saveexec_b64 s[0:1], vcc
	s_xor_b64 s[20:21], exec, s[0:1]
	s_cbranch_execz .LBB0_4
; %bb.3:                                ;   in Loop: Header=BB0_2 Depth=1
	v_cvt_f32_u32_e32 v4, s18
	v_cvt_f32_u32_e32 v7, s19
	s_sub_u32 s0, 0, s18
	s_subb_u32 s1, 0, s19
	v_mac_f32_e32 v4, 0x4f800000, v7
	v_rcp_f32_e32 v4, v4
	v_mul_f32_e32 v4, 0x5f7ffffc, v4
	v_mul_f32_e32 v7, 0x2f800000, v4
	v_trunc_f32_e32 v7, v7
	v_mac_f32_e32 v4, 0xcf800000, v7
	v_cvt_u32_f32_e32 v7, v7
	v_cvt_u32_f32_e32 v4, v4
	v_mul_lo_u32 v8, s0, v7
	v_mul_hi_u32 v10, s0, v4
	v_mul_lo_u32 v12, s1, v4
	v_mul_lo_u32 v11, s0, v4
	v_add_u32_e32 v8, v10, v8
	v_add_u32_e32 v8, v8, v12
	v_mul_hi_u32 v10, v4, v11
	v_mul_lo_u32 v12, v4, v8
	v_mul_hi_u32 v14, v4, v8
	v_mul_hi_u32 v13, v7, v11
	v_mul_lo_u32 v11, v7, v11
	v_mul_hi_u32 v15, v7, v8
	v_add_co_u32_e32 v10, vcc, v10, v12
	v_addc_co_u32_e32 v12, vcc, 0, v14, vcc
	v_mul_lo_u32 v8, v7, v8
	v_add_co_u32_e32 v10, vcc, v10, v11
	v_addc_co_u32_e32 v10, vcc, v12, v13, vcc
	v_addc_co_u32_e32 v11, vcc, 0, v15, vcc
	v_add_co_u32_e32 v8, vcc, v10, v8
	v_addc_co_u32_e32 v10, vcc, 0, v11, vcc
	v_add_co_u32_e32 v4, vcc, v4, v8
	v_addc_co_u32_e32 v7, vcc, v7, v10, vcc
	v_mul_lo_u32 v8, s0, v7
	v_mul_hi_u32 v10, s0, v4
	v_mul_lo_u32 v11, s1, v4
	v_mul_lo_u32 v12, s0, v4
	v_add_u32_e32 v8, v10, v8
	v_add_u32_e32 v8, v8, v11
	v_mul_lo_u32 v13, v4, v8
	v_mul_hi_u32 v14, v4, v12
	v_mul_hi_u32 v15, v4, v8
	;; [unrolled: 1-line block ×3, first 2 shown]
	v_mul_lo_u32 v12, v7, v12
	v_mul_hi_u32 v10, v7, v8
	v_add_co_u32_e32 v13, vcc, v14, v13
	v_addc_co_u32_e32 v14, vcc, 0, v15, vcc
	v_mul_lo_u32 v8, v7, v8
	v_add_co_u32_e32 v12, vcc, v13, v12
	v_addc_co_u32_e32 v11, vcc, v14, v11, vcc
	v_addc_co_u32_e32 v10, vcc, 0, v10, vcc
	v_add_co_u32_e32 v8, vcc, v11, v8
	v_addc_co_u32_e32 v10, vcc, 0, v10, vcc
	v_add_co_u32_e32 v4, vcc, v4, v8
	v_addc_co_u32_e32 v10, vcc, v7, v10, vcc
	v_mad_u64_u32 v[7:8], s[0:1], v5, v10, 0
	v_mul_hi_u32 v11, v5, v4
	v_add_co_u32_e32 v12, vcc, v11, v7
	v_addc_co_u32_e32 v13, vcc, 0, v8, vcc
	v_mad_u64_u32 v[7:8], s[0:1], v6, v4, 0
	v_mad_u64_u32 v[10:11], s[0:1], v6, v10, 0
	v_add_co_u32_e32 v4, vcc, v12, v7
	v_addc_co_u32_e32 v4, vcc, v13, v8, vcc
	v_addc_co_u32_e32 v7, vcc, 0, v11, vcc
	v_add_co_u32_e32 v4, vcc, v4, v10
	v_addc_co_u32_e32 v10, vcc, 0, v7, vcc
	v_mul_lo_u32 v11, s19, v4
	v_mul_lo_u32 v12, s18, v10
	v_mad_u64_u32 v[7:8], s[0:1], s18, v4, 0
	v_add3_u32 v8, v8, v12, v11
	v_sub_u32_e32 v11, v6, v8
	v_mov_b32_e32 v12, s19
	v_sub_co_u32_e32 v7, vcc, v5, v7
	v_subb_co_u32_e64 v11, s[0:1], v11, v12, vcc
	v_subrev_co_u32_e64 v12, s[0:1], s18, v7
	v_subbrev_co_u32_e64 v11, s[0:1], 0, v11, s[0:1]
	v_cmp_le_u32_e64 s[0:1], s19, v11
	v_cndmask_b32_e64 v13, 0, -1, s[0:1]
	v_cmp_le_u32_e64 s[0:1], s18, v12
	v_cndmask_b32_e64 v12, 0, -1, s[0:1]
	v_cmp_eq_u32_e64 s[0:1], s19, v11
	v_cndmask_b32_e64 v11, v13, v12, s[0:1]
	v_add_co_u32_e64 v12, s[0:1], 2, v4
	v_addc_co_u32_e64 v13, s[0:1], 0, v10, s[0:1]
	v_add_co_u32_e64 v14, s[0:1], 1, v4
	v_addc_co_u32_e64 v15, s[0:1], 0, v10, s[0:1]
	v_subb_co_u32_e32 v8, vcc, v6, v8, vcc
	v_cmp_ne_u32_e64 s[0:1], 0, v11
	v_cmp_le_u32_e32 vcc, s19, v8
	v_cndmask_b32_e64 v11, v15, v13, s[0:1]
	v_cndmask_b32_e64 v13, 0, -1, vcc
	v_cmp_le_u32_e32 vcc, s18, v7
	v_cndmask_b32_e64 v7, 0, -1, vcc
	v_cmp_eq_u32_e32 vcc, s19, v8
	v_cndmask_b32_e32 v7, v13, v7, vcc
	v_cmp_ne_u32_e32 vcc, 0, v7
	v_cndmask_b32_e64 v7, v14, v12, s[0:1]
	v_cndmask_b32_e32 v8, v10, v11, vcc
	v_cndmask_b32_e32 v7, v4, v7, vcc
.LBB0_4:                                ;   in Loop: Header=BB0_2 Depth=1
	s_andn2_saveexec_b64 s[0:1], s[20:21]
	s_cbranch_execz .LBB0_6
; %bb.5:                                ;   in Loop: Header=BB0_2 Depth=1
	v_cvt_f32_u32_e32 v4, s18
	s_sub_i32 s20, 0, s18
	v_rcp_iflag_f32_e32 v4, v4
	v_mul_f32_e32 v4, 0x4f7ffffe, v4
	v_cvt_u32_f32_e32 v4, v4
	v_mul_lo_u32 v7, s20, v4
	v_mul_hi_u32 v7, v4, v7
	v_add_u32_e32 v4, v4, v7
	v_mul_hi_u32 v4, v5, v4
	v_mul_lo_u32 v7, v4, s18
	v_add_u32_e32 v8, 1, v4
	v_sub_u32_e32 v7, v5, v7
	v_subrev_u32_e32 v10, s18, v7
	v_cmp_le_u32_e32 vcc, s18, v7
	v_cndmask_b32_e32 v7, v7, v10, vcc
	v_cndmask_b32_e32 v4, v4, v8, vcc
	v_add_u32_e32 v8, 1, v4
	v_cmp_le_u32_e32 vcc, s18, v7
	v_cndmask_b32_e32 v7, v4, v8, vcc
	v_mov_b32_e32 v8, v3
.LBB0_6:                                ;   in Loop: Header=BB0_2 Depth=1
	s_or_b64 exec, exec, s[0:1]
	v_mul_lo_u32 v4, v8, s18
	v_mul_lo_u32 v12, v7, s19
	v_mad_u64_u32 v[10:11], s[0:1], v7, s18, 0
	s_load_dwordx2 s[0:1], s[6:7], 0x0
	s_add_u32 s16, s16, 1
	v_add3_u32 v4, v11, v12, v4
	v_sub_co_u32_e32 v5, vcc, v5, v10
	v_subb_co_u32_e32 v4, vcc, v6, v4, vcc
	s_waitcnt lgkmcnt(0)
	v_mul_lo_u32 v4, s0, v4
	v_mul_lo_u32 v6, s1, v5
	v_mad_u64_u32 v[1:2], s[0:1], s0, v5, v[1:2]
	s_addc_u32 s17, s17, 0
	s_add_u32 s6, s6, 8
	v_add3_u32 v2, v6, v2, v4
	v_mov_b32_e32 v4, s10
	v_mov_b32_e32 v5, s11
	s_addc_u32 s7, s7, 0
	v_cmp_ge_u64_e32 vcc, s[16:17], v[4:5]
	s_add_u32 s14, s14, 8
	s_addc_u32 s15, s15, 0
	s_cbranch_vccnz .LBB0_9
; %bb.7:                                ;   in Loop: Header=BB0_2 Depth=1
	v_mov_b32_e32 v5, v7
	v_mov_b32_e32 v6, v8
	s_branch .LBB0_2
.LBB0_8:
	v_mov_b32_e32 v8, v6
	v_mov_b32_e32 v7, v5
.LBB0_9:
	s_lshl_b64 s[0:1], s[10:11], 3
	s_add_u32 s0, s12, s0
	s_addc_u32 s1, s13, s1
	s_load_dwordx2 s[6:7], s[0:1], 0x0
	s_load_dwordx2 s[10:11], s[4:5], 0x20
	v_and_b32_e32 v5, 1, v9
	v_mov_b32_e32 v6, 0x4c9
	v_cmp_eq_u32_e32 vcc, 1, v5
	s_waitcnt lgkmcnt(0)
	v_mul_lo_u32 v3, s6, v8
	v_mul_lo_u32 v4, s7, v7
	v_mad_u64_u32 v[1:2], s[0:1], s6, v7, v[1:2]
	s_mov_b32 s0, 0x2828283
	v_add3_u32 v2, v4, v2, v3
	v_mul_hi_u32 v3, v0, s0
	v_cndmask_b32_e32 v4, 0, v6, vcc
	v_cmp_gt_u64_e64 s[0:1], s[10:11], v[7:8]
	v_lshlrev_b32_e32 v28, 2, v4
	v_mul_u32_u24_e32 v3, 0x66, v3
	v_sub_u32_e32 v0, v0, v3
	v_lshlrev_b64 v[2:3], 2, v[1:2]
	v_lshlrev_b32_e32 v21, 2, v0
	s_and_saveexec_b64 s[4:5], s[0:1]
	s_cbranch_execz .LBB0_11
; %bb.10:
	v_mov_b32_e32 v1, 0
	v_mov_b32_e32 v4, s3
	v_add_co_u32_e32 v6, vcc, s2, v2
	v_addc_co_u32_e32 v7, vcc, v4, v3, vcc
	v_lshlrev_b64 v[4:5], 2, v[0:1]
	v_add_co_u32_e32 v4, vcc, v6, v4
	v_addc_co_u32_e32 v5, vcc, v7, v5, vcc
	global_load_dword v1, v[4:5], off
	global_load_dword v8, v[4:5], off offset:408
	global_load_dword v9, v[4:5], off offset:816
	;; [unrolled: 1-line block ×7, first 2 shown]
	v_add_co_u32_e32 v6, vcc, 0x1000, v4
	v_addc_co_u32_e32 v7, vcc, 0, v5, vcc
	global_load_dword v15, v[4:5], off offset:3264
	global_load_dword v16, v[4:5], off offset:3672
	;; [unrolled: 1-line block ×4, first 2 shown]
	v_add3_u32 v4, 0, v28, v21
	v_add_u32_e32 v5, 0x200, v4
	v_add_u32_e32 v6, 0x400, v4
	;; [unrolled: 1-line block ×4, first 2 shown]
	s_waitcnt vmcnt(8)
	ds_write2_b32 v5, v9, v10 offset0:76 offset1:178
	ds_write2_b32 v4, v1, v8 offset1:102
	s_waitcnt vmcnt(6)
	ds_write2_b32 v6, v11, v12 offset0:152 offset1:254
	s_waitcnt vmcnt(4)
	ds_write2_b32 v7, v13, v14 offset0:100 offset1:202
	;; [unrolled: 2-line block ×3, first 2 shown]
	v_add_u32_e32 v1, 0xe00, v4
	s_waitcnt vmcnt(0)
	ds_write2_b32 v1, v17, v18 offset0:124 offset1:226
.LBB0_11:
	s_or_b64 exec, exec, s[4:5]
	v_add_u32_e32 v29, 0, v21
	v_add_u32_e32 v22, v29, v28
	;; [unrolled: 1-line block ×5, first 2 shown]
	s_waitcnt lgkmcnt(0)
	s_barrier
	v_add_u32_e32 v20, v1, v21
	ds_read2_b32 v[14:15], v22 offset0:72 offset1:144
	ds_read_b32 v30, v20
	ds_read2_b32 v[12:13], v23 offset0:88 offset1:160
	v_add_u32_e32 v24, 0x400, v22
	v_add_u32_e32 v27, 0x600, v22
	;; [unrolled: 1-line block ×4, first 2 shown]
	ds_read2_b32 v[18:19], v4 offset0:56 offset1:128
	ds_read2_b32 v[8:9], v24 offset0:104 offset1:176
	;; [unrolled: 1-line block ×6, first 2 shown]
	s_movk_i32 s4, 0x48
	v_cmp_gt_u32_e32 vcc, s4, v0
	s_waitcnt lgkmcnt(0)
	s_barrier
	s_and_saveexec_b64 s[4:5], vcc
	s_cbranch_execz .LBB0_13
; %bb.12:
	v_pk_add_f16 v31, v30, v14
	v_pk_add_f16 v31, v31, v15
	v_pk_add_f16 v31, v31, v12
	v_pk_add_f16 v31, v31, v13
	v_pk_add_f16 v31, v31, v8
	v_pk_add_f16 v31, v31, v9
	v_pk_add_f16 v31, v31, v4
	v_pk_add_f16 v31, v31, v5
	v_pk_add_f16 v31, v31, v6
	v_pk_add_f16 v31, v31, v7
	v_pk_add_f16 v31, v31, v10
	v_pk_add_f16 v31, v31, v11
	v_pk_add_f16 v31, v31, v16
	v_pk_add_f16 v31, v31, v17
	v_pk_add_f16 v31, v31, v18
	v_lshlrev_b32_e32 v32, 6, v0
	v_pk_add_f16 v34, v31, v19
	v_pk_add_f16 v31, v19, v14
	v_pk_add_f16 v14, v14, v19 neg_lo:[0,1] neg_hi:[0,1]
	v_add3_u32 v29, v29, v32, v28
	v_lshrrev_b32_e32 v32, 16, v31
	v_pk_add_f16 v19, v18, v15
	v_pk_add_f16 v15, v15, v18 neg_lo:[0,1] neg_hi:[0,1]
	s_movk_i32 s10, 0x39e9
	v_mul_f16_e32 v36, 0xb964, v14
	v_lshrrev_b32_e32 v33, 16, v19
	v_pk_add_f16 v18, v17, v12
	v_pk_add_f16 v12, v12, v17 neg_lo:[0,1] neg_hi:[0,1]
	v_pk_add_f16 v17, v16, v13
	v_pk_add_f16 v13, v13, v16 neg_lo:[0,1] neg_hi:[0,1]
	v_pk_add_f16 v16, v11, v8
	s_movk_i32 s7, 0x2de8
	v_pk_add_f16 v8, v8, v11 neg_lo:[0,1] neg_hi:[0,1]
	v_pk_add_f16 v11, v10, v9
	v_pk_add_f16 v9, v9, v10 neg_lo:[0,1] neg_hi:[0,1]
	v_pk_add_f16 v10, v7, v4
	;; [unrolled: 2-line block ×3, first 2 shown]
	v_pk_add_f16 v5, v5, v6 neg_lo:[0,1] neg_hi:[0,1]
	v_fma_f16 v6, v32, s10, v36
	v_mul_f16_e32 v38, 0xbbf7, v15
	s_mov_b32 s6, 0xb8d2
	v_add_f16_sdwa v6, v30, v6 dst_sel:DWORD dst_unused:UNUSED_PAD src0_sel:WORD_1 src1_sel:DWORD
	v_fma_f16 v35, v33, s7, v38
	v_lshrrev_b32_e32 v37, 16, v18
	v_mul_f16_e32 v39, 0xba62, v12
	v_add_f16_e32 v6, v35, v6
	v_fma_f16 v35, v37, s6, v39
	s_mov_b32 s14, 0xbbdd
	v_lshrrev_b32_e32 v40, 16, v17
	v_mul_f16_e32 v41, 0xb1e1, v13
	v_add_f16_e32 v6, v35, v6
	v_fma_f16 v35, v40, s14, v41
	s_mov_b32 s13, 0xbacd
	v_lshrrev_b32_e32 v42, 16, v16
	v_mul_f16_e32 v43, 0x3836, v8
	v_add_f16_e32 v6, v35, v6
	v_fma_f16 v35, v42, s13, v43
	s_mov_b32 s12, 0xb461
	v_lshrrev_b32_e32 v44, 16, v11
	v_mul_f16_e32 v45, 0x3bb2, v9
	v_add_f16_e32 v6, v35, v6
	v_fma_f16 v35, v44, s12, v45
	s_movk_i32 s15, 0x3722
	v_lshrrev_b32_e32 v46, 16, v10
	v_mul_f16_e32 v47, 0x3b29, v4
	v_add_f16_e32 v6, v35, v6
	v_fma_f16 v35, v46, s15, v47
	s_movk_i32 s16, 0x3b76
	v_lshrrev_b32_e32 v48, 16, v7
	v_mul_f16_e32 v50, 0x35c8, v5
	v_add_f16_e32 v6, v35, v6
	v_fma_f16 v35, v48, s16, v50
	s_mov_b32 s17, 0x3b7639e9
	v_add_f16_e32 v72, v35, v6
	s_mov_b32 s11, 0xb964b5c8
	v_pk_mul_f16 v6, v31, s17
	s_mov_b32 s18, 0x39e92de8
	v_pk_fma_f16 v51, v14, s11, v6 op_sel:[0,0,1] op_sel_hi:[1,1,0]
	v_pk_fma_f16 v49, v14, s11, v6 op_sel:[0,0,1] op_sel_hi:[1,1,0] neg_lo:[1,0,0] neg_hi:[1,0,0]
	s_mov_b32 s11, 0xffff
	s_mov_b32 s17, 0xbbf7b964
	v_pk_mul_f16 v35, v19, s18
	v_bfi_b32 v6, s11, v51, v49
	v_pk_fma_f16 v53, v15, s17, v35 op_sel:[0,0,1] op_sel_hi:[1,1,0]
	v_pk_fma_f16 v52, v15, s17, v35 op_sel:[0,0,1] op_sel_hi:[1,1,0] neg_lo:[1,0,0] neg_hi:[1,0,0]
	v_pk_add_f16 v6, v30, v6 op_sel:[1,0] op_sel_hi:[0,1]
	v_bfi_b32 v35, s11, v53, v52
	s_mov_b32 s18, 0x3722b8d2
	v_pk_add_f16 v6, v35, v6
	s_mov_b32 s17, 0xba62bb29
	v_pk_mul_f16 v35, v18, s18
	v_pk_fma_f16 v55, v12, s17, v35 op_sel:[0,0,1] op_sel_hi:[1,1,0]
	v_pk_fma_f16 v54, v12, s17, v35 op_sel:[0,0,1] op_sel_hi:[1,1,0] neg_lo:[1,0,0] neg_hi:[1,0,0]
	v_bfi_b32 v35, s11, v55, v54
	s_mov_b32 s18, 0x2de8bbdd
	v_pk_add_f16 v6, v35, v6
	s_mov_b32 s17, 0xb1e1bbf7
	v_pk_mul_f16 v35, v17, s18
	v_pk_fma_f16 v57, v13, s17, v35 op_sel:[0,0,1] op_sel_hi:[1,1,0]
	v_pk_fma_f16 v56, v13, s17, v35 op_sel:[0,0,1] op_sel_hi:[1,1,0] neg_lo:[1,0,0] neg_hi:[1,0,0]
	;; [unrolled: 7-line block ×4, first 2 shown]
	s_mov_b32 s18, 0xbacd3722
	v_bfi_b32 v35, s11, v61, v60
	s_mov_b32 s17, 0x3b29b836
	v_pk_mul_f16 v62, v10, s18
	v_pk_add_f16 v35, v35, v6
	v_pk_fma_f16 v6, v4, s17, v62 op_sel:[0,0,1] op_sel_hi:[1,1,0]
	v_pk_fma_f16 v62, v4, s17, v62 op_sel:[0,0,1] op_sel_hi:[1,1,0] neg_lo:[1,0,0] neg_hi:[1,0,0]
	v_bfi_b32 v63, s11, v6, v62
	s_mov_b32 s18, 0xbbdd3b76
	v_pk_add_f16 v64, v63, v35
	s_mov_b32 s17, 0x35c8b1e1
	v_pk_mul_f16 v35, v7, s18
	v_pk_fma_f16 v65, v5, s17, v35 op_sel:[0,0,1] op_sel_hi:[1,1,0]
	v_pk_fma_f16 v63, v5, s17, v35 op_sel:[0,0,1] op_sel_hi:[1,1,0] neg_lo:[1,0,0] neg_hi:[1,0,0]
	v_bfi_b32 v65, s11, v65, v63
	s_mov_b32 s27, 0xb5c8
	v_pk_add_f16 v73, v65, v64
	v_mul_f16_sdwa v64, v14, s27 dst_sel:DWORD dst_unused:UNUSED_PAD src0_sel:WORD_1 src1_sel:DWORD
	s_mov_b32 s22, 0xb964
	v_fma_f16 v65, v31, s16, -v64
	v_add_f16_e32 v66, v30, v65
	v_mul_f16_sdwa v65, v15, s22 dst_sel:DWORD dst_unused:UNUSED_PAD src0_sel:WORD_1 src1_sel:DWORD
	v_fma_f16 v67, v19, s10, -v65
	s_mov_b32 s23, 0xbb29
	v_add_f16_e32 v67, v67, v66
	v_mul_f16_sdwa v66, v12, s23 dst_sel:DWORD dst_unused:UNUSED_PAD src0_sel:WORD_1 src1_sel:DWORD
	v_fma_f16 v68, v18, s15, -v66
	s_mov_b32 s26, 0xbbf7
	;; [unrolled: 4-line block ×6, first 2 shown]
	v_add_f16_e32 v74, v74, v71
	v_mul_f16_sdwa v71, v5, s21 dst_sel:DWORD dst_unused:UNUSED_PAD src0_sel:WORD_1 src1_sel:DWORD
	v_fma_f16 v75, v7, s14, -v71
	v_add_f16_e32 v74, v75, v74
	v_alignbit_b32 v72, v72, v73, 16
	v_pack_b32_f16 v73, v74, v73
	ds_write2_b32 v29, v73, v72 offset0:1 offset1:2
	v_mul_f16_e32 v72, 0xbbf7, v14
	v_fma_f16 v73, v32, s7, v72
	v_mul_f16_e32 v74, 0xb1e1, v15
	v_add_f16_sdwa v73, v30, v73 dst_sel:DWORD dst_unused:UNUSED_PAD src0_sel:WORD_1 src1_sel:DWORD
	v_fma_f16 v75, v33, s14, v74
	v_add_f16_e32 v73, v75, v73
	v_mul_f16_e32 v75, 0x3bb2, v12
	v_fma_f16 v76, v37, s12, v75
	v_add_f16_e32 v73, v76, v73
	v_mul_f16_e32 v76, 0x35c8, v13
	;; [unrolled: 3-line block ×6, first 2 shown]
	v_fma_f16 v81, v48, s10, v80
	v_add_f16_e32 v73, v81, v73
	v_mul_f16_sdwa v81, v14, s26 dst_sel:DWORD dst_unused:UNUSED_PAD src0_sel:WORD_1 src1_sel:DWORD
	v_fma_f16 v82, v31, s7, -v81
	v_mul_f16_sdwa v83, v15, s21 dst_sel:DWORD dst_unused:UNUSED_PAD src0_sel:WORD_1 src1_sel:DWORD
	v_add_f16_e32 v82, v30, v82
	v_fma_f16 v84, v19, s14, -v83
	s_movk_i32 s30, 0x3bb2
	v_add_f16_e32 v82, v84, v82
	v_mul_f16_sdwa v84, v12, s30 dst_sel:DWORD dst_unused:UNUSED_PAD src0_sel:WORD_1 src1_sel:DWORD
	v_fma_f16 v85, v18, s12, -v84
	s_movk_i32 s24, 0x35c8
	v_add_f16_e32 v82, v85, v82
	v_mul_f16_sdwa v85, v13, s24 dst_sel:DWORD dst_unused:UNUSED_PAD src0_sel:WORD_1 src1_sel:DWORD
	v_fma_f16 v86, v17, s16, -v85
	v_add_f16_e32 v82, v86, v82
	v_mul_f16_sdwa v86, v8, s23 dst_sel:DWORD dst_unused:UNUSED_PAD src0_sel:WORD_1 src1_sel:DWORD
	v_fma_f16 v87, v16, s15, -v86
	;; [unrolled: 3-line block ×3, first 2 shown]
	s_movk_i32 s33, 0x3a62
	v_add_f16_e32 v82, v88, v82
	v_mul_f16_sdwa v88, v4, s33 dst_sel:DWORD dst_unused:UNUSED_PAD src0_sel:WORD_1 src1_sel:DWORD
	v_fma_f16 v89, v10, s6, -v88
	s_movk_i32 s25, 0x3964
	v_add_f16_e32 v82, v89, v82
	v_mul_f16_sdwa v89, v5, s25 dst_sel:DWORD dst_unused:UNUSED_PAD src0_sel:WORD_1 src1_sel:DWORD
	v_fma_f16 v90, v7, s10, -v89
	v_add_f16_e32 v82, v90, v82
	v_mul_f16_e32 v90, 0xbb29, v14
	v_fma_f16 v91, v32, s15, v90
	v_mul_f16_e32 v92, 0xba62, v15
	v_add_f16_sdwa v91, v30, v91 dst_sel:DWORD dst_unused:UNUSED_PAD src0_sel:WORD_1 src1_sel:DWORD
	v_fma_f16 v93, v33, s6, v92
	v_add_f16_e32 v91, v93, v91
	v_mul_f16_e32 v93, 0x31e1, v12
	v_fma_f16 v94, v37, s14, v93
	v_add_f16_e32 v91, v94, v91
	v_mul_f16_e32 v94, 0x3bb2, v13
	;; [unrolled: 3-line block ×6, first 2 shown]
	v_fma_f16 v99, v5, s20, v98
	v_add_f16_e32 v91, v99, v91
	v_mul_f16_sdwa v99, v14, s23 dst_sel:DWORD dst_unused:UNUSED_PAD src0_sel:WORD_1 src1_sel:DWORD
	v_fma_f16 v100, v31, s15, -v99
	v_mul_f16_sdwa v101, v15, s19 dst_sel:DWORD dst_unused:UNUSED_PAD src0_sel:WORD_1 src1_sel:DWORD
	v_add_f16_e32 v100, v30, v100
	v_fma_f16 v102, v19, s6, -v101
	s_movk_i32 s31, 0x31e1
	v_add_f16_e32 v100, v102, v100
	v_mul_f16_sdwa v102, v12, s31 dst_sel:DWORD dst_unused:UNUSED_PAD src0_sel:WORD_1 src1_sel:DWORD
	v_fma_f16 v103, v18, s14, -v102
	v_add_f16_e32 v100, v103, v100
	v_mul_f16_sdwa v103, v13, s30 dst_sel:DWORD dst_unused:UNUSED_PAD src0_sel:WORD_1 src1_sel:DWORD
	v_fma_f16 v104, v17, s12, -v103
	;; [unrolled: 3-line block ×6, first 2 shown]
	v_add_f16_e32 v100, v108, v100
	v_pack_b32_f16 v73, v82, v73
	v_pack_b32_f16 v82, v100, v91
	ds_write2_b32 v29, v82, v73 offset0:3 offset1:4
	v_mul_f16_e32 v73, 0xb8d2, v32
	v_fma_f16 v82, v14, s19, v73
	v_mul_f16_e32 v91, 0xb461, v33
	v_add_f16_sdwa v82, v30, v82 dst_sel:DWORD dst_unused:UNUSED_PAD src0_sel:WORD_1 src1_sel:DWORD
	v_fma_f16 v100, v15, s30, v91
	v_add_f16_e32 v82, v100, v82
	v_mul_f16_e32 v100, 0x3b76, v37
	v_fma_f16 v108, v12, s27, v100
	v_add_f16_e32 v82, v108, v82
	v_mul_f16_e32 v108, 0xbacd, v40
	v_fma_f16 v109, v13, s20, v108
	v_add_f16_e32 v82, v109, v82
	s_movk_i32 s28, 0x3bf7
	v_mul_f16_e32 v109, 0x2de8, v42
	v_fma_f16 v110, v8, s28, v109
	v_add_f16_e32 v82, v110, v82
	v_mul_f16_e32 v110, 0x39e9, v44
	v_fma_f16 v111, v9, s22, v110
	v_add_f16_e32 v82, v111, v82
	;; [unrolled: 3-line block ×3, first 2 shown]
	s_movk_i32 s29, 0x3b29
	v_mul_f16_e32 v112, 0x3722, v48
	v_fma_f16 v113, v5, s29, v112
	v_add_f16_e32 v82, v113, v82
	v_mul_f16_sdwa v113, v14, s19 dst_sel:DWORD dst_unused:UNUSED_PAD src0_sel:WORD_1 src1_sel:DWORD
	v_fma_f16 v114, v31, s6, -v113
	v_mul_f16_sdwa v115, v15, s30 dst_sel:DWORD dst_unused:UNUSED_PAD src0_sel:WORD_1 src1_sel:DWORD
	v_add_f16_e32 v114, v30, v114
	v_fma_f16 v116, v19, s12, -v115
	v_add_f16_e32 v114, v116, v114
	v_mul_f16_sdwa v116, v12, s27 dst_sel:DWORD dst_unused:UNUSED_PAD src0_sel:WORD_1 src1_sel:DWORD
	v_fma_f16 v117, v18, s16, -v116
	v_add_f16_e32 v114, v117, v114
	v_mul_f16_sdwa v117, v13, s20 dst_sel:DWORD dst_unused:UNUSED_PAD src0_sel:WORD_1 src1_sel:DWORD
	;; [unrolled: 3-line block ×6, first 2 shown]
	v_fma_f16 v122, v7, s15, -v121
	v_add_f16_e32 v114, v122, v114
	v_mul_f16_e32 v122, 0xbbb2, v14
	v_fma_f16 v123, v32, s12, v122
	v_mul_f16_e32 v124, 0x3836, v15
	v_add_f16_sdwa v123, v30, v123 dst_sel:DWORD dst_unused:UNUSED_PAD src0_sel:WORD_1 src1_sel:DWORD
	v_fma_f16 v125, v33, s13, v124
	v_add_f16_e32 v123, v125, v123
	v_mul_f16_e32 v125, 0x3964, v12
	v_fma_f16 v126, v37, s10, v125
	v_add_f16_e32 v123, v126, v123
	v_mul_f16_e32 v126, 0xbb29, v13
	;; [unrolled: 3-line block ×6, first 2 shown]
	v_fma_f16 v131, v48, s6, v130
	v_add_f16_e32 v123, v131, v123
	s_movk_i32 s34, 0x3836
	v_mul_f16_sdwa v131, v14, s18 dst_sel:DWORD dst_unused:UNUSED_PAD src0_sel:WORD_1 src1_sel:DWORD
	v_fma_f16 v132, v31, s12, -v131
	v_mul_f16_sdwa v133, v15, s34 dst_sel:DWORD dst_unused:UNUSED_PAD src0_sel:WORD_1 src1_sel:DWORD
	v_add_f16_e32 v132, v30, v132
	v_fma_f16 v134, v19, s13, -v133
	v_add_f16_e32 v132, v134, v132
	v_mul_f16_sdwa v134, v12, s25 dst_sel:DWORD dst_unused:UNUSED_PAD src0_sel:WORD_1 src1_sel:DWORD
	v_fma_f16 v135, v18, s10, -v134
	v_add_f16_e32 v132, v135, v132
	v_mul_f16_sdwa v135, v13, s23 dst_sel:DWORD dst_unused:UNUSED_PAD src0_sel:WORD_1 src1_sel:DWORD
	;; [unrolled: 3-line block ×6, first 2 shown]
	v_fma_f16 v140, v7, s6, -v139
	v_add_f16_e32 v132, v140, v132
	v_pack_b32_f16 v82, v114, v82
	v_pack_b32_f16 v114, v132, v123
	ds_write2_b32 v29, v114, v82 offset0:5 offset1:6
	v_mul_f16_e32 v82, 0xbacd, v32
	v_fma_f16 v114, v14, s20, v82
	v_mul_f16_e32 v123, 0x3722, v33
	v_add_f16_sdwa v114, v30, v114 dst_sel:DWORD dst_unused:UNUSED_PAD src0_sel:WORD_1 src1_sel:DWORD
	v_fma_f16 v132, v15, s29, v123
	v_add_f16_e32 v114, v132, v114
	v_mul_f16_e32 v132, 0x2de8, v37
	v_fma_f16 v140, v12, s26, v132
	v_add_f16_e32 v114, v140, v114
	v_mul_f16_e32 v140, 0xb8d2, v40
	v_fma_f16 v141, v13, s33, v140
	v_add_f16_e32 v114, v141, v114
	v_mul_f16_e32 v141, 0x3b76, v42
	v_fma_f16 v142, v8, s27, v141
	v_add_f16_e32 v114, v142, v114
	v_mul_f16_e32 v142, 0xbbdd, v44
	v_fma_f16 v143, v9, s21, v142
	v_add_f16_e32 v114, v143, v114
	v_mul_f16_e32 v143, 0x39e9, v46
	v_fma_f16 v144, v4, s25, v143
	v_add_f16_e32 v114, v144, v114
	v_mul_f16_e32 v144, 0xb461, v48
	v_fma_f16 v145, v5, s18, v144
	v_add_f16_e32 v114, v145, v114
	v_mul_f16_sdwa v145, v14, s20 dst_sel:DWORD dst_unused:UNUSED_PAD src0_sel:WORD_1 src1_sel:DWORD
	v_fma_f16 v146, v31, s13, -v145
	v_mul_f16_sdwa v147, v15, s29 dst_sel:DWORD dst_unused:UNUSED_PAD src0_sel:WORD_1 src1_sel:DWORD
	v_add_f16_e32 v146, v30, v146
	v_fma_f16 v148, v19, s15, -v147
	v_add_f16_e32 v146, v148, v146
	v_mul_f16_sdwa v148, v12, s26 dst_sel:DWORD dst_unused:UNUSED_PAD src0_sel:WORD_1 src1_sel:DWORD
	v_fma_f16 v149, v18, s7, -v148
	v_add_f16_e32 v146, v149, v146
	v_mul_f16_sdwa v149, v13, s33 dst_sel:DWORD dst_unused:UNUSED_PAD src0_sel:WORD_1 src1_sel:DWORD
	;; [unrolled: 3-line block ×6, first 2 shown]
	v_fma_f16 v154, v7, s12, -v153
	v_add_f16_e32 v146, v154, v146
	v_pack_b32_f16 v114, v146, v114
	ds_write2_b32 v29, v34, v114 offset1:7
	v_fma_f16 v34, v14, s33, v73
	v_add_f16_sdwa v34, v30, v34 dst_sel:DWORD dst_unused:UNUSED_PAD src0_sel:WORD_1 src1_sel:DWORD
	v_fma_f16 v73, v15, s18, v91
	v_add_f16_e32 v34, v73, v34
	v_fma_f16 v73, v12, s24, v100
	v_add_f16_e32 v34, v73, v34
	;; [unrolled: 2-line block ×14, first 2 shown]
	v_fma_f16 v91, v7, s15, v121
	v_fma_f16 v82, v14, s34, v82
	v_fma_f16 v72, v32, s7, -v72
	v_add_f16_e32 v73, v91, v73
	v_add_f16_sdwa v82, v30, v82 dst_sel:DWORD dst_unused:UNUSED_PAD src0_sel:WORD_1 src1_sel:DWORD
	v_fma_f16 v91, v15, s23, v123
	v_add_f16_sdwa v72, v30, v72 dst_sel:DWORD dst_unused:UNUSED_PAD src0_sel:WORD_1 src1_sel:DWORD
	v_fma_f16 v74, v33, s14, -v74
	v_add_f16_e32 v82, v91, v82
	v_fma_f16 v91, v12, s28, v132
	v_add_f16_e32 v72, v74, v72
	v_fma_f16 v74, v37, s12, -v75
	v_add_f16_e32 v82, v91, v82
	v_fma_f16 v91, v13, s19, v140
	v_add_f16_e32 v72, v74, v72
	v_fma_f16 v74, v40, s16, -v76
	v_add_f16_e32 v82, v91, v82
	v_fma_f16 v91, v8, s24, v141
	v_add_f16_e32 v72, v74, v72
	v_fma_f16 v74, v42, s15, -v77
	v_add_f16_e32 v82, v91, v82
	v_fma_f16 v91, v9, s31, v142
	v_add_f16_e32 v72, v74, v72
	v_fma_f16 v74, v44, s13, -v78
	v_add_f16_e32 v82, v91, v82
	v_fma_f16 v91, v4, s22, v143
	v_add_f16_e32 v72, v74, v72
	v_fma_f16 v74, v46, s6, -v79
	v_add_f16_e32 v82, v91, v82
	v_fma_f16 v91, v5, s30, v144
	v_add_f16_e32 v72, v74, v72
	v_fma_f16 v74, v48, s10, -v80
	v_add_f16_e32 v82, v91, v82
	v_fma_f16 v91, v31, s13, v145
	v_add_f16_e32 v72, v74, v72
	v_fma_f16 v74, v31, s7, v81
	v_add_f16_e32 v91, v30, v91
	v_fma_f16 v100, v19, s15, v147
	v_add_f16_e32 v74, v30, v74
	v_fma_f16 v75, v19, s14, v83
	v_add_f16_e32 v91, v100, v91
	v_fma_f16 v100, v18, s7, v148
	v_add_f16_e32 v74, v75, v74
	v_fma_f16 v75, v18, s12, v84
	v_add_f16_e32 v91, v100, v91
	v_fma_f16 v100, v17, s6, v149
	v_add_f16_e32 v74, v75, v74
	v_fma_f16 v75, v17, s16, v85
	v_add_f16_e32 v91, v100, v91
	v_fma_f16 v100, v16, s16, v150
	v_add_f16_e32 v74, v75, v74
	v_fma_f16 v75, v16, s15, v86
	v_add_f16_e32 v91, v100, v91
	v_fma_f16 v100, v11, s14, v151
	v_add_f16_e32 v74, v75, v74
	v_fma_f16 v75, v11, s13, v87
	v_add_f16_e32 v91, v100, v91
	v_fma_f16 v100, v10, s10, v152
	v_add_f16_e32 v74, v75, v74
	v_fma_f16 v75, v10, s6, v88
	v_add_f16_e32 v91, v100, v91
	v_fma_f16 v100, v7, s12, v153
	v_add_f16_e32 v74, v75, v74
	v_fma_f16 v75, v7, s10, v89
	v_add_f16_e32 v91, v100, v91
	v_fma_f16 v100, v32, s12, -v122
	v_add_f16_e32 v74, v75, v74
	v_fma_f16 v75, v32, s15, -v90
	v_fma_f16 v32, v32, s10, -v36
	v_add_f16_sdwa v100, v30, v100 dst_sel:DWORD dst_unused:UNUSED_PAD src0_sel:WORD_1 src1_sel:DWORD
	v_fma_f16 v108, v33, s13, -v124
	v_fma_f16 v76, v33, s6, -v92
	;; [unrolled: 1-line block ×3, first 2 shown]
	v_add_f16_sdwa v32, v30, v32 dst_sel:DWORD dst_unused:UNUSED_PAD src0_sel:WORD_1 src1_sel:DWORD
	v_fma_f16 v38, v31, s16, v64
	v_add_f16_e32 v100, v108, v100
	v_fma_f16 v108, v37, s10, -v125
	v_add_f16_e32 v32, v33, v32
	v_fma_f16 v33, v37, s6, -v39
	v_add_f16_e32 v38, v30, v38
	v_fma_f16 v39, v19, s10, v65
	v_add_f16_e32 v100, v108, v100
	v_fma_f16 v108, v40, s15, -v126
	v_add_f16_sdwa v75, v30, v75 dst_sel:DWORD dst_unused:UNUSED_PAD src0_sel:WORD_1 src1_sel:DWORD
	v_add_f16_e32 v38, v39, v38
	v_fma_f16 v39, v18, s15, v66
	v_add_f16_e32 v100, v108, v100
	v_fma_f16 v108, v42, s14, -v127
	v_add_f16_e32 v75, v76, v75
	v_fma_f16 v76, v37, s14, -v93
	v_add_f16_e32 v38, v39, v38
	v_fma_f16 v39, v17, s7, v67
	v_add_f16_e32 v100, v108, v100
	v_fma_f16 v108, v44, s7, -v128
	v_add_f16_e32 v75, v76, v75
	v_fma_f16 v76, v40, s12, -v94
	;; [unrolled: 6-line block ×4, first 2 shown]
	v_add_f16_e32 v38, v39, v38
	v_fma_f16 v39, v10, s13, v70
	v_add_f16_e32 v100, v108, v100
	v_fma_f16 v108, v31, s12, v131
	;; [unrolled: 2-line block ×4, first 2 shown]
	v_pk_mul_f16 v31, v31, s14 op_sel_hi:[1,0]
	v_add_f16_e32 v108, v30, v108
	v_fma_f16 v109, v19, s13, v133
	v_add_f16_e32 v76, v30, v76
	v_fma_f16 v77, v19, s6, v101
	v_add_f16_e32 v38, v39, v38
	v_pk_fma_f16 v39, v14, s21, v31 op_sel:[0,0,1] op_sel_hi:[1,0,0] neg_lo:[1,0,0] neg_hi:[1,0,0]
	v_pk_mul_f16 v19, v19, s16 op_sel_hi:[1,0]
	v_pk_fma_f16 v14, v14, s21, v31 op_sel:[0,0,1] op_sel_hi:[1,0,0]
	v_add_f16_e32 v108, v109, v108
	v_fma_f16 v109, v18, s10, v134
	v_add_f16_e32 v76, v77, v76
	v_fma_f16 v77, v18, s14, v102
	v_add_f16_e32 v32, v33, v32
	v_fma_f16 v33, v40, s14, -v41
	v_pk_add_f16 v39, v30, v39 op_sel:[1,0] op_sel_hi:[0,1]
	v_pk_fma_f16 v40, v15, s24, v19 op_sel:[0,0,1] op_sel_hi:[1,0,0] neg_lo:[1,0,0] neg_hi:[1,0,0]
	v_pk_mul_f16 v18, v18, s13 op_sel_hi:[1,0]
	v_pk_add_f16 v14, v30, v14 op_sel:[1,0] op_sel_hi:[0,1]
	v_pk_fma_f16 v15, v15, s24, v19 op_sel:[0,0,1] op_sel_hi:[1,0,0]
	v_add_f16_e32 v108, v109, v108
	v_fma_f16 v109, v17, s15, v135
	v_add_f16_e32 v76, v77, v76
	v_fma_f16 v77, v17, s12, v103
	v_add_f16_e32 v32, v33, v32
	v_fma_f16 v33, v42, s13, -v43
	v_pk_add_f16 v39, v40, v39
	v_pk_fma_f16 v40, v12, s20, v18 op_sel:[0,0,1] op_sel_hi:[1,0,0] neg_lo:[1,0,0] neg_hi:[1,0,0]
	v_pk_mul_f16 v17, v17, s10 op_sel_hi:[1,0]
	v_pk_add_f16 v14, v15, v14
	v_pk_fma_f16 v12, v12, s20, v18 op_sel:[0,0,1] op_sel_hi:[1,0,0]
	v_add_f16_e32 v108, v109, v108
	v_fma_f16 v109, v16, s14, v136
	v_add_f16_e32 v76, v77, v76
	v_fma_f16 v77, v16, s10, v104
	v_add_f16_e32 v32, v33, v32
	v_fma_f16 v33, v44, s12, -v45
	v_pk_add_f16 v39, v40, v39
	v_pk_fma_f16 v40, v13, s25, v17 op_sel:[0,0,1] op_sel_hi:[1,0,0] neg_lo:[1,0,0] neg_hi:[1,0,0]
	v_pk_mul_f16 v16, v16, s6 op_sel_hi:[1,0]
	v_pk_add_f16 v12, v12, v14
	;; [unrolled: 11-line block ×4, first 2 shown]
	v_pk_fma_f16 v9, v9, s29, v11 op_sel:[0,0,1] op_sel_hi:[1,0,0]
	v_add_f16_e32 v108, v109, v108
	v_fma_f16 v109, v7, s6, v139
	v_add_f16_e32 v76, v77, v76
	v_fma_f16 v77, v7, s13, v107
	v_add_f16_e32 v32, v36, v32
	v_pk_add_f16 v36, v30, v51 op_sel:[1,0] op_sel_hi:[0,1]
	v_pk_add_f16 v39, v40, v39
	v_pk_fma_f16 v40, v4, s18, v10 op_sel:[0,0,1] op_sel_hi:[1,0,0] neg_lo:[1,0,0] neg_hi:[1,0,0]
	v_pk_mul_f16 v7, v7, s7 op_sel_hi:[1,0]
	v_pk_add_f16 v8, v9, v8
	v_pk_fma_f16 v4, v4, s18, v10 op_sel:[0,0,1] op_sel_hi:[1,0,0]
	v_pk_add_f16 v36, v53, v36
	v_pk_add_f16 v39, v40, v39
	v_pk_fma_f16 v40, v5, s28, v7 op_sel:[0,0,1] op_sel_hi:[1,0,0] neg_lo:[1,0,0] neg_hi:[1,0,0]
	v_mul_f16_e32 v9, 0xb836, v5
	v_pk_add_f16 v4, v4, v8
	v_pk_mul_f16 v8, v5, s17
	v_pk_fma_f16 v5, v5, s28, v7 op_sel:[0,0,1] op_sel_hi:[1,0,0]
	v_pk_add_f16 v36, v55, v36
	v_pk_add_f16 v39, v40, v39
	;; [unrolled: 1-line block ×4, first 2 shown]
	v_alignbit_b32 v5, v39, v4, 16
	v_alignbit_b32 v4, v4, v39, 16
	v_add_f16_e32 v108, v109, v108
	v_pk_add_f16 v36, v59, v36
	v_add_f16_sdwa v37, v30, v49 dst_sel:DWORD dst_unused:UNUSED_PAD src0_sel:WORD_1 src1_sel:DWORD
	ds_write2_b32 v29, v4, v5 offset0:8 offset1:9
	v_pack_b32_f16 v4, v73, v34
	v_pack_b32_f16 v5, v91, v82
	v_pk_add_f16 v36, v61, v36
	v_add_f16_e32 v37, v52, v37
	ds_write2_b32 v29, v5, v4 offset0:10 offset1:11
	v_pack_b32_f16 v4, v74, v72
	v_pack_b32_f16 v5, v108, v100
	v_add_f16_e32 v37, v54, v37
	ds_write2_b32 v29, v5, v4 offset0:12 offset1:13
	v_bfi_b32 v4, s11, v9, v36
	v_fma_f16 v33, v46, s7, -v97
	v_add_f16_e32 v37, v56, v37
	v_pk_add_f16 v4, v98, v4 neg_lo:[0,1] neg_hi:[0,1]
	v_pk_add_f16 v5, v6, v36
	v_add_f16_e32 v37, v58, v37
	v_bfi_b32 v4, s11, v4, v5
	v_pack_b32_f16 v5, v33, v35
	v_bfi_b32 v6, s11, v75, v8
	v_add_f16_e32 v37, v60, v37
	v_pk_add_f16 v5, v5, v6
	v_add_f16_e32 v76, v77, v76
	v_add_f16_e32 v37, v62, v37
	v_pk_add_f16 v4, v4, v5
	v_add_f16_e32 v37, v63, v37
	v_alignbit_b32 v5, v32, v4, 16
	v_pack_b32_f16 v4, v76, v4
	ds_write2_b32 v29, v4, v5 offset0:14 offset1:15
	v_pack_b32_f16 v4, v38, v37
	ds_write_b32 v29, v4 offset:64
.LBB0_13:
	s_or_b64 exec, exec, s[4:5]
	s_movk_i32 s4, 0xf1
	v_add_u16_e32 v35, 0x66, v0
	v_add_u32_e32 v31, 0xcc, v0
	v_mul_lo_u16_sdwa v4, v0, s4 dst_sel:DWORD dst_unused:UNUSED_PAD src0_sel:BYTE_0 src1_sel:DWORD
	v_mul_lo_u16_sdwa v5, v35, s4 dst_sel:DWORD dst_unused:UNUSED_PAD src0_sel:BYTE_0 src1_sel:DWORD
	s_mov_b32 s4, 0xf0f1
	v_lshrrev_b16_e32 v32, 12, v4
	v_mul_u32_u24_sdwa v7, v31, s4 dst_sel:DWORD dst_unused:UNUSED_PAD src0_sel:WORD_0 src1_sel:DWORD
	v_add_u32_e32 v10, 0x132, v0
	v_mul_lo_u16_e32 v4, 17, v32
	v_lshrrev_b16_e32 v36, 12, v5
	v_lshrrev_b32_e32 v38, 20, v7
	v_sub_u16_e32 v33, v0, v4
	v_mov_b32_e32 v34, 3
	v_mul_lo_u16_e32 v5, 17, v36
	v_mul_lo_u16_e32 v7, 17, v38
	v_mul_u32_u24_sdwa v9, v10, s4 dst_sel:DWORD dst_unused:UNUSED_PAD src0_sel:WORD_0 src1_sel:DWORD
	v_lshlrev_b32_sdwa v4, v34, v33 dst_sel:DWORD dst_unused:UNUSED_PAD src0_sel:DWORD src1_sel:BYTE_0
	v_sub_u16_e32 v37, v35, v5
	v_sub_u16_e32 v39, v31, v7
	v_lshrrev_b32_e32 v40, 20, v9
	s_waitcnt lgkmcnt(0)
	s_barrier
	v_lshlrev_b32_sdwa v6, v34, v37 dst_sel:DWORD dst_unused:UNUSED_PAD src0_sel:DWORD src1_sel:BYTE_0
	global_load_dwordx2 v[4:5], v4, s[8:9]
	v_lshlrev_b32_e32 v8, 3, v39
	global_load_dwordx2 v[6:7], v6, s[8:9]
	v_mul_lo_u16_e32 v11, 17, v40
	global_load_dwordx2 v[8:9], v8, s[8:9]
	v_sub_u16_e32 v41, v10, v11
	v_lshlrev_b32_e32 v10, 3, v41
	global_load_dwordx2 v[10:11], v10, s[8:9]
	ds_read2_b32 v[12:13], v24 offset0:50 offset1:152
	v_add_u32_e32 v42, 0xa00, v22
	ds_read2_b32 v[14:15], v22 offset0:102 offset1:204
	ds_read2_b32 v[16:17], v27 offset0:126 offset1:228
	ds_read_b32 v43, v20
	ds_read2_b32 v[18:19], v26 offset0:150 offset1:252
	ds_read_b32 v44, v22 offset:4488
	ds_read2_b32 v[29:30], v42 offset0:74 offset1:176
	s_movk_i32 s5, 0x3aee
	s_waitcnt lgkmcnt(6)
	v_lshrrev_b32_e32 v52, 16, v13
	s_waitcnt lgkmcnt(4)
	v_lshrrev_b32_e32 v48, 16, v17
	;; [unrolled: 2-line block ×4, first 2 shown]
	v_lshrrev_b32_e32 v51, 16, v44
	v_lshrrev_b32_e32 v53, 16, v16
	;; [unrolled: 1-line block ×4, first 2 shown]
	s_mov_b32 s4, 0xbaee
	v_lshrrev_b32_e32 v46, 16, v14
	v_lshrrev_b32_e32 v55, 16, v29
	;; [unrolled: 1-line block ×4, first 2 shown]
	s_movk_i32 s6, 0xcc
	s_waitcnt vmcnt(0)
	s_barrier
	v_cmp_gt_u32_e32 vcc, 51, v0
	s_add_u32 s7, s8, 0x12dc
	v_mul_f16_sdwa v57, v4, v52 dst_sel:DWORD dst_unused:UNUSED_PAD src0_sel:WORD_1 src1_sel:DWORD
	v_mul_f16_sdwa v59, v5, v56 dst_sel:DWORD dst_unused:UNUSED_PAD src0_sel:WORD_1 src1_sel:DWORD
	v_mul_f16_sdwa v58, v4, v13 dst_sel:DWORD dst_unused:UNUSED_PAD src0_sel:WORD_1 src1_sel:DWORD
	v_mul_f16_sdwa v60, v5, v30 dst_sel:DWORD dst_unused:UNUSED_PAD src0_sel:WORD_1 src1_sel:DWORD
	v_mul_f16_sdwa v67, v49, v9 dst_sel:DWORD dst_unused:UNUSED_PAD src0_sel:DWORD src1_sel:WORD_1
	v_mul_f16_sdwa v68, v19, v9 dst_sel:DWORD dst_unused:UNUSED_PAD src0_sel:DWORD src1_sel:WORD_1
	v_fma_f16 v13, v4, v13, -v57
	v_fma_f16 v30, v5, v30, -v59
	v_mul_f16_sdwa v65, v48, v8 dst_sel:DWORD dst_unused:UNUSED_PAD src0_sel:DWORD src1_sel:WORD_1
	v_mul_f16_sdwa v66, v17, v8 dst_sel:DWORD dst_unused:UNUSED_PAD src0_sel:DWORD src1_sel:WORD_1
	v_fma_f16 v4, v4, v52, v58
	v_fma_f16 v5, v5, v56, v60
	v_fma_f16 v19, v19, v9, -v67
	v_fma_f16 v9, v49, v9, v68
	v_add_f16_e32 v49, v13, v30
	v_mul_f16_sdwa v61, v6, v53 dst_sel:DWORD dst_unused:UNUSED_PAD src0_sel:WORD_1 src1_sel:DWORD
	v_mul_f16_sdwa v63, v7, v54 dst_sel:DWORD dst_unused:UNUSED_PAD src0_sel:WORD_1 src1_sel:DWORD
	v_mul_f16_sdwa v71, v51, v11 dst_sel:DWORD dst_unused:UNUSED_PAD src0_sel:DWORD src1_sel:WORD_1
	v_mul_f16_sdwa v72, v44, v11 dst_sel:DWORD dst_unused:UNUSED_PAD src0_sel:DWORD src1_sel:WORD_1
	v_fma_f16 v17, v17, v8, -v65
	v_fma_f16 v8, v48, v8, v66
	v_add_f16_e32 v48, v43, v13
	v_fma_f16 v43, v49, -0.5, v43
	v_sub_f16_e32 v49, v4, v5
	v_mul_f16_sdwa v62, v6, v16 dst_sel:DWORD dst_unused:UNUSED_PAD src0_sel:WORD_1 src1_sel:DWORD
	v_mul_f16_sdwa v64, v7, v18 dst_sel:DWORD dst_unused:UNUSED_PAD src0_sel:WORD_1 src1_sel:DWORD
	v_fma_f16 v16, v6, v16, -v61
	v_fma_f16 v18, v7, v18, -v63
	;; [unrolled: 1-line block ×3, first 2 shown]
	v_fma_f16 v11, v51, v11, v72
	v_fma_f16 v51, v49, s5, v43
	;; [unrolled: 1-line block ×3, first 2 shown]
	v_add_f16_e32 v49, v45, v4
	v_add_f16_e32 v4, v4, v5
	v_fma_f16 v6, v6, v53, v62
	v_fma_f16 v7, v7, v54, v64
	v_add_f16_e32 v48, v48, v30
	v_add_f16_e32 v49, v49, v5
	v_fma_f16 v4, v4, -0.5, v45
	v_sub_f16_e32 v5, v13, v30
	v_add_f16_e32 v30, v16, v18
	v_fma_f16 v13, v5, s4, v4
	v_fma_f16 v4, v5, s5, v4
	v_add_f16_e32 v5, v14, v16
	v_fma_f16 v14, v30, -0.5, v14
	v_sub_f16_e32 v30, v6, v7
	v_fma_f16 v45, v30, s5, v14
	v_fma_f16 v14, v30, s4, v14
	v_add_f16_e32 v30, v46, v6
	v_add_f16_e32 v6, v6, v7
	;; [unrolled: 1-line block ×4, first 2 shown]
	v_fma_f16 v6, v6, -0.5, v46
	v_sub_f16_e32 v7, v16, v18
	v_add_f16_e32 v18, v17, v19
	v_mul_f16_sdwa v69, v55, v10 dst_sel:DWORD dst_unused:UNUSED_PAD src0_sel:DWORD src1_sel:WORD_1
	v_fma_f16 v16, v7, s4, v6
	v_fma_f16 v6, v7, s5, v6
	v_add_f16_e32 v7, v15, v17
	v_fma_f16 v15, v18, -0.5, v15
	v_sub_f16_e32 v18, v8, v9
	v_mul_f16_sdwa v70, v29, v10 dst_sel:DWORD dst_unused:UNUSED_PAD src0_sel:DWORD src1_sel:WORD_1
	v_fma_f16 v29, v29, v10, -v69
	v_fma_f16 v46, v18, s5, v15
	v_fma_f16 v15, v18, s4, v15
	v_add_f16_e32 v18, v47, v8
	v_add_f16_e32 v8, v8, v9
	v_fma_f16 v10, v55, v10, v70
	v_add_f16_e32 v7, v7, v19
	v_add_f16_e32 v18, v18, v9
	v_fma_f16 v8, v8, -0.5, v47
	v_sub_f16_e32 v9, v17, v19
	v_add_f16_e32 v19, v29, v44
	v_fma_f16 v17, v9, s4, v8
	v_fma_f16 v8, v9, s5, v8
	v_add_f16_e32 v9, v12, v29
	v_fma_f16 v12, v19, -0.5, v12
	v_sub_f16_e32 v19, v10, v11
	v_fma_f16 v47, v19, s5, v12
	v_fma_f16 v12, v19, s4, v12
	v_add_f16_e32 v19, v50, v10
	v_add_f16_e32 v10, v10, v11
	;; [unrolled: 1-line block ×4, first 2 shown]
	v_fma_f16 v10, v10, -0.5, v50
	v_sub_f16_e32 v11, v29, v44
	v_mov_b32_e32 v44, 2
	v_fma_f16 v29, v11, s4, v10
	v_fma_f16 v10, v11, s5, v10
	v_mad_u32_u24 v11, v32, s6, 0
	v_lshlrev_b32_sdwa v32, v44, v33 dst_sel:DWORD dst_unused:UNUSED_PAD src0_sel:DWORD src1_sel:BYTE_0
	v_add3_u32 v11, v11, v32, v28
	v_pack_b32_f16 v32, v48, v49
	v_pack_b32_f16 v13, v51, v13
	;; [unrolled: 1-line block ×3, first 2 shown]
	ds_write2_b32 v11, v32, v13 offset1:17
	ds_write_b32 v11, v4 offset:136
	v_mad_u32_u24 v4, v36, s6, 0
	v_lshlrev_b32_sdwa v11, v44, v37 dst_sel:DWORD dst_unused:UNUSED_PAD src0_sel:DWORD src1_sel:BYTE_0
	v_add3_u32 v4, v4, v11, v28
	v_pack_b32_f16 v5, v5, v30
	v_pack_b32_f16 v11, v45, v16
	ds_write2_b32 v4, v5, v11 offset1:17
	v_pack_b32_f16 v5, v14, v6
	ds_write_b32 v4, v5 offset:136
	v_mad_u32_u24 v4, v38, s6, 0
	v_lshlrev_b32_e32 v5, 2, v39
	v_add3_u32 v4, v4, v5, v28
	v_pack_b32_f16 v5, v7, v18
	v_pack_b32_f16 v6, v46, v17
	ds_write2_b32 v4, v5, v6 offset1:17
	v_pack_b32_f16 v5, v15, v8
	ds_write_b32 v4, v5 offset:136
	v_mad_u32_u24 v4, v40, s6, 0
	v_lshlrev_b32_e32 v5, 2, v41
	v_add3_u32 v4, v4, v5, v28
	v_pack_b32_f16 v5, v9, v19
	v_pack_b32_f16 v6, v47, v29
	ds_write2_b32 v4, v5, v6 offset1:17
	v_pack_b32_f16 v5, v12, v10
	ds_write_b32 v4, v5 offset:136
	v_subrev_u32_e32 v4, 51, v0
	v_cndmask_b32_e32 v19, v4, v0, vcc
	v_mul_i32_i24_e32 v4, 3, v19
	v_mov_b32_e32 v5, 0
	v_lshlrev_b64 v[6:7], 2, v[4:5]
	v_mov_b32_e32 v4, s9
	v_add_co_u32_e32 v6, vcc, s8, v6
	v_addc_co_u32_e32 v7, vcc, v4, v7, vcc
	s_waitcnt lgkmcnt(0)
	s_barrier
	global_load_dwordx3 v[6:8], v[6:7], off offset:136
	s_movk_i32 s6, 0xa1
	v_mul_lo_u16_sdwa v4, v35, s6 dst_sel:DWORD dst_unused:UNUSED_PAD src0_sel:BYTE_0 src1_sel:DWORD
	v_lshrrev_b16_e32 v4, 13, v4
	v_mul_lo_u16_e32 v9, 51, v4
	v_sub_u16_e32 v35, v35, v9
	v_mul_u32_u24_sdwa v9, v35, v34 dst_sel:DWORD dst_unused:UNUSED_PAD src0_sel:BYTE_0 src1_sel:DWORD
	v_lshlrev_b32_e32 v9, 2, v9
	global_load_dwordx3 v[9:11], v9, s[8:9] offset:136
	s_mov_b32 s6, 0xa0a1
	v_mul_u32_u24_sdwa v12, v31, s6 dst_sel:DWORD dst_unused:UNUSED_PAD src0_sel:WORD_0 src1_sel:DWORD
	v_lshrrev_b32_e32 v36, 21, v12
	v_mul_lo_u16_e32 v12, 51, v36
	v_sub_u16_e32 v37, v31, v12
	v_mul_u32_u24_e32 v12, 3, v37
	v_lshlrev_b32_e32 v12, 2, v12
	global_load_dwordx3 v[12:14], v12, s[8:9] offset:136
	ds_read2_b32 v[15:16], v24 offset0:50 offset1:152
	ds_read2_b32 v[17:18], v27 offset0:126 offset1:228
	;; [unrolled: 1-line block ×4, first 2 shown]
	ds_read_b32 v38, v20
	ds_read_b32 v39, v22 offset:4488
	ds_read2_b32 v[33:34], v22 offset0:102 offset1:204
	s_waitcnt lgkmcnt(6)
	v_lshrrev_b32_e32 v46, 16, v15
	s_waitcnt lgkmcnt(4)
	v_lshrrev_b32_e32 v40, 16, v30
	v_lshrrev_b32_e32 v41, 16, v17
	s_waitcnt lgkmcnt(3)
	v_lshrrev_b32_e32 v43, 16, v32
	s_waitcnt lgkmcnt(1)
	v_lshrrev_b32_e32 v45, 16, v39
	v_cmp_lt_u32_e32 vcc, 50, v0
	v_lshlrev_b32_e32 v19, 2, v19
	s_waitcnt vmcnt(0) lgkmcnt(0)
	s_barrier
	s_movk_i32 s6, 0x330
	v_mad_u32_u24 v4, v4, s6, 0
	v_mul_f16_sdwa v47, v6, v46 dst_sel:DWORD dst_unused:UNUSED_PAD src0_sel:WORD_1 src1_sel:DWORD
	v_fma_f16 v47, v6, v15, -v47
	v_mul_f16_sdwa v15, v6, v15 dst_sel:DWORD dst_unused:UNUSED_PAD src0_sel:WORD_1 src1_sel:DWORD
	v_fma_f16 v6, v6, v46, v15
	v_lshrrev_b32_e32 v15, 16, v18
	v_mul_f16_sdwa v46, v7, v15 dst_sel:DWORD dst_unused:UNUSED_PAD src0_sel:WORD_1 src1_sel:DWORD
	v_fma_f16 v46, v7, v18, -v46
	v_mul_f16_sdwa v18, v7, v18 dst_sel:DWORD dst_unused:UNUSED_PAD src0_sel:WORD_1 src1_sel:DWORD
	v_fma_f16 v7, v7, v15, v18
	v_lshrrev_b32_e32 v15, 16, v29
	;; [unrolled: 5-line block ×4, first 2 shown]
	v_mul_f16_sdwa v16, v10, v15 dst_sel:DWORD dst_unused:UNUSED_PAD src0_sel:WORD_1 src1_sel:DWORD
	v_fma_f16 v16, v10, v31, -v16
	v_mul_f16_sdwa v31, v10, v31 dst_sel:DWORD dst_unused:UNUSED_PAD src0_sel:WORD_1 src1_sel:DWORD
	v_fma_f16 v10, v10, v15, v31
	v_mul_f16_sdwa v15, v40, v11 dst_sel:DWORD dst_unused:UNUSED_PAD src0_sel:DWORD src1_sel:WORD_1
	v_fma_f16 v15, v30, v11, -v15
	v_mul_f16_sdwa v30, v30, v11 dst_sel:DWORD dst_unused:UNUSED_PAD src0_sel:DWORD src1_sel:WORD_1
	v_fma_f16 v11, v40, v11, v30
	v_mul_f16_sdwa v30, v41, v12 dst_sel:DWORD dst_unused:UNUSED_PAD src0_sel:DWORD src1_sel:WORD_1
	v_fma_f16 v30, v17, v12, -v30
	v_mul_f16_sdwa v17, v17, v12 dst_sel:DWORD dst_unused:UNUSED_PAD src0_sel:DWORD src1_sel:WORD_1
	v_fma_f16 v12, v41, v12, v17
	v_mul_f16_sdwa v17, v43, v13 dst_sel:DWORD dst_unused:UNUSED_PAD src0_sel:DWORD src1_sel:WORD_1
	v_mul_f16_sdwa v31, v32, v13 dst_sel:DWORD dst_unused:UNUSED_PAD src0_sel:DWORD src1_sel:WORD_1
	v_fma_f16 v17, v32, v13, -v17
	v_fma_f16 v13, v43, v13, v31
	v_mul_f16_sdwa v31, v45, v14 dst_sel:DWORD dst_unused:UNUSED_PAD src0_sel:DWORD src1_sel:WORD_1
	v_mul_f16_sdwa v32, v39, v14 dst_sel:DWORD dst_unused:UNUSED_PAD src0_sel:DWORD src1_sel:WORD_1
	v_fma_f16 v31, v39, v14, -v31
	v_fma_f16 v14, v45, v14, v32
	v_lshrrev_b32_e32 v32, 16, v38
	v_sub_f16_e32 v39, v38, v46
	v_sub_f16_e32 v7, v32, v7
	;; [unrolled: 1-line block ×4, first 2 shown]
	v_fma_f16 v38, v38, 2.0, -v39
	v_fma_f16 v32, v32, 2.0, -v7
	;; [unrolled: 1-line block ×4, first 2 shown]
	v_mov_b32_e32 v45, 0x330
	v_sub_f16_e32 v40, v38, v40
	v_sub_f16_e32 v6, v32, v6
	;; [unrolled: 1-line block ×3, first 2 shown]
	v_add_f16_e32 v18, v7, v18
	v_lshrrev_b32_e32 v41, 16, v33
	v_cndmask_b32_e32 v45, 0, v45, vcc
	v_fma_f16 v38, v38, 2.0, -v40
	v_fma_f16 v32, v32, 2.0, -v6
	;; [unrolled: 1-line block ×4, first 2 shown]
	v_sub_f16_e32 v16, v33, v16
	v_sub_f16_e32 v10, v41, v10
	;; [unrolled: 1-line block ×4, first 2 shown]
	v_add_u32_e32 v45, 0, v45
	v_fma_f16 v33, v33, 2.0, -v16
	v_fma_f16 v41, v41, 2.0, -v10
	;; [unrolled: 1-line block ×4, first 2 shown]
	v_add3_u32 v19, v45, v19, v28
	v_pack_b32_f16 v32, v38, v32
	v_pack_b32_f16 v7, v39, v7
	v_sub_f16_e32 v29, v33, v29
	v_sub_f16_e32 v9, v41, v9
	;; [unrolled: 1-line block ×3, first 2 shown]
	v_add_f16_e32 v15, v10, v15
	v_lshrrev_b32_e32 v43, 16, v34
	ds_write2_b32 v19, v32, v7 offset1:51
	v_pack_b32_f16 v6, v40, v6
	v_pack_b32_f16 v7, v8, v18
	v_fma_f16 v33, v33, 2.0, -v29
	v_fma_f16 v41, v41, 2.0, -v9
	;; [unrolled: 1-line block ×4, first 2 shown]
	v_sub_f16_e32 v17, v34, v17
	v_sub_f16_e32 v13, v43, v13
	;; [unrolled: 1-line block ×4, first 2 shown]
	ds_write2_b32 v19, v6, v7 offset0:102 offset1:153
	v_lshlrev_b32_sdwa v6, v44, v35 dst_sel:DWORD dst_unused:UNUSED_PAD src0_sel:DWORD src1_sel:BYTE_0
	v_fma_f16 v34, v34, 2.0, -v17
	v_fma_f16 v43, v43, 2.0, -v13
	;; [unrolled: 1-line block ×4, first 2 shown]
	v_add3_u32 v4, v4, v6, v28
	v_pack_b32_f16 v6, v33, v41
	v_pack_b32_f16 v7, v16, v10
	v_sub_f16_e32 v30, v34, v30
	v_sub_f16_e32 v12, v43, v12
	;; [unrolled: 1-line block ×3, first 2 shown]
	v_add_f16_e32 v31, v13, v31
	ds_write2_b32 v4, v6, v7 offset1:51
	v_pack_b32_f16 v6, v29, v9
	v_pack_b32_f16 v7, v11, v15
	v_fma_f16 v34, v34, 2.0, -v30
	v_fma_f16 v43, v43, 2.0, -v12
	;; [unrolled: 1-line block ×4, first 2 shown]
	ds_write2_b32 v4, v6, v7 offset0:102 offset1:153
	v_mad_u32_u24 v4, v36, s6, 0
	v_lshlrev_b32_e32 v6, 2, v37
	v_add3_u32 v4, v4, v6, v28
	v_pack_b32_f16 v6, v34, v43
	v_pack_b32_f16 v7, v17, v13
	ds_write2_b32 v4, v6, v7 offset1:51
	v_pack_b32_f16 v6, v30, v12
	v_pack_b32_f16 v7, v14, v31
	ds_write2_b32 v4, v6, v7 offset0:102 offset1:153
	v_mul_u32_u24_e32 v4, 5, v0
	v_lshlrev_b32_e32 v4, 2, v4
	s_waitcnt lgkmcnt(0)
	s_barrier
	global_load_dwordx4 v[6:9], v4, s[8:9] offset:748
	global_load_dword v31, v4, s[8:9] offset:764
	global_load_dwordx4 v[10:13], v4, s[8:9] offset:2788
	global_load_dword v32, v4, s[8:9] offset:2804
	ds_read_b32 v4, v20
	ds_read_b32 v33, v22 offset:4488
	ds_read2_b32 v[14:15], v22 offset0:102 offset1:204
	ds_read2_b32 v[16:17], v24 offset0:50 offset1:152
	;; [unrolled: 1-line block ×5, first 2 shown]
	s_waitcnt lgkmcnt(4)
	v_lshrrev_b32_e32 v41, 16, v15
	s_waitcnt lgkmcnt(3)
	v_lshrrev_b32_e32 v36, 16, v16
	;; [unrolled: 2-line block ×5, first 2 shown]
	v_lshrrev_b32_e32 v40, 16, v33
	v_lshrrev_b32_e32 v34, 16, v4
	;; [unrolled: 1-line block ×3, first 2 shown]
	s_waitcnt vmcnt(0)
	s_barrier
	s_mov_b32 s6, 0xffff
	s_addc_u32 s8, s9, 0
	v_cmp_ne_u32_e32 vcc, 0, v0
	v_mul_f16_sdwa v42, v6, v41 dst_sel:DWORD dst_unused:UNUSED_PAD src0_sel:WORD_1 src1_sel:DWORD
	v_fma_f16 v42, v6, v15, -v42
	v_mul_f16_sdwa v15, v6, v15 dst_sel:DWORD dst_unused:UNUSED_PAD src0_sel:WORD_1 src1_sel:DWORD
	v_fma_f16 v6, v6, v41, v15
	v_lshrrev_b32_e32 v15, 16, v17
	v_mul_f16_sdwa v41, v7, v15 dst_sel:DWORD dst_unused:UNUSED_PAD src0_sel:WORD_1 src1_sel:DWORD
	v_fma_f16 v41, v7, v17, -v41
	v_mul_f16_sdwa v17, v7, v17 dst_sel:DWORD dst_unused:UNUSED_PAD src0_sel:WORD_1 src1_sel:DWORD
	v_fma_f16 v7, v7, v15, v17
	v_lshrrev_b32_e32 v15, 16, v19
	;; [unrolled: 5-line block ×4, first 2 shown]
	v_mul_f16_sdwa v28, v31, v15 dst_sel:DWORD dst_unused:UNUSED_PAD src0_sel:WORD_1 src1_sel:DWORD
	v_fma_f16 v28, v31, v30, -v28
	v_mul_f16_sdwa v30, v31, v30 dst_sel:DWORD dst_unused:UNUSED_PAD src0_sel:WORD_1 src1_sel:DWORD
	v_fma_f16 v15, v31, v15, v30
	v_mul_f16_sdwa v30, v36, v10 dst_sel:DWORD dst_unused:UNUSED_PAD src0_sel:DWORD src1_sel:WORD_1
	v_fma_f16 v30, v16, v10, -v30
	v_mul_f16_sdwa v16, v16, v10 dst_sel:DWORD dst_unused:UNUSED_PAD src0_sel:DWORD src1_sel:WORD_1
	v_fma_f16 v10, v36, v10, v16
	v_mul_f16_sdwa v16, v37, v11 dst_sel:DWORD dst_unused:UNUSED_PAD src0_sel:DWORD src1_sel:WORD_1
	v_fma_f16 v16, v18, v11, -v16
	v_mul_f16_sdwa v18, v18, v11 dst_sel:DWORD dst_unused:UNUSED_PAD src0_sel:DWORD src1_sel:WORD_1
	;; [unrolled: 4-line block ×5, first 2 shown]
	v_add_f16_e32 v33, v41, v19
	v_fma_f16 v31, v40, v32, v31
	v_add_f16_e32 v32, v4, v41
	v_fma_f16 v4, v33, -0.5, v4
	v_sub_f16_e32 v33, v7, v9
	v_fma_f16 v36, v33, s5, v4
	v_fma_f16 v4, v33, s4, v4
	v_add_f16_e32 v33, v34, v7
	v_add_f16_e32 v7, v7, v9
	v_fma_f16 v7, v7, -0.5, v34
	v_add_f16_e32 v34, v17, v28
	v_fma_f16 v34, v34, -0.5, v42
	v_sub_f16_e32 v37, v8, v15
	v_fma_f16 v38, v37, s5, v34
	v_fma_f16 v34, v37, s4, v34
	v_add_f16_e32 v37, v6, v8
	v_add_f16_e32 v8, v8, v15
	v_fma_f16 v6, v8, -0.5, v6
	v_sub_f16_e32 v8, v17, v28
	v_add_f16_e32 v33, v33, v9
	v_sub_f16_e32 v9, v41, v19
	v_add_f16_e32 v37, v37, v15
	v_fma_f16 v15, v8, s4, v6
	v_add_f16_e32 v32, v32, v19
	v_fma_f16 v19, v9, s4, v7
	v_fma_f16 v7, v9, s5, v7
	v_add_f16_e32 v9, v42, v17
	v_mul_f16_e32 v17, 0x3aee, v15
	v_fma_f16 v6, v8, s5, v6
	v_fma_f16 v17, v38, 0.5, v17
	v_mul_f16_e32 v39, -0.5, v34
	v_mul_f16_e32 v38, 0xbaee, v38
	v_fma_f16 v39, v6, s5, v39
	v_fma_f16 v15, v15, 0.5, v38
	v_mul_f16_e32 v6, -0.5, v6
	v_add_f16_e32 v38, v19, v15
	v_fma_f16 v6, v34, s4, v6
	v_sub_f16_e32 v15, v19, v15
	v_add_f16_e32 v19, v16, v27
	v_add_f16_e32 v9, v9, v28
	;; [unrolled: 1-line block ×3, first 2 shown]
	v_sub_f16_e32 v6, v7, v6
	v_add_f16_e32 v7, v14, v16
	v_fma_f16 v14, v19, -0.5, v14
	v_sub_f16_e32 v19, v11, v13
	v_add_f16_e32 v8, v32, v9
	v_add_f16_e32 v41, v33, v37
	v_sub_f16_e32 v9, v32, v9
	v_sub_f16_e32 v32, v33, v37
	v_fma_f16 v33, v19, s5, v14
	v_fma_f16 v14, v19, s4, v14
	v_add_f16_e32 v19, v35, v11
	v_add_f16_e32 v11, v11, v13
	;; [unrolled: 1-line block ×4, first 2 shown]
	v_fma_f16 v11, v11, -0.5, v35
	v_sub_f16_e32 v13, v16, v27
	v_add_f16_e32 v27, v18, v29
	v_fma_f16 v16, v13, s4, v11
	v_fma_f16 v11, v13, s5, v11
	v_add_f16_e32 v13, v30, v18
	v_fma_f16 v27, v27, -0.5, v30
	v_sub_f16_e32 v30, v12, v31
	v_fma_f16 v35, v30, s5, v27
	v_fma_f16 v27, v30, s4, v27
	v_add_f16_e32 v30, v10, v12
	v_add_f16_e32 v12, v12, v31
	v_fma_f16 v10, v12, -0.5, v10
	v_sub_f16_e32 v12, v18, v29
	v_fma_f16 v18, v12, s4, v10
	v_add_f16_e32 v13, v13, v29
	v_mul_f16_e32 v29, 0x3aee, v18
	v_add_f16_e32 v28, v36, v17
	v_sub_f16_e32 v17, v36, v17
	v_add_f16_e32 v30, v30, v31
	v_fma_f16 v10, v12, s5, v10
	v_fma_f16 v29, v35, 0.5, v29
	v_mul_f16_e32 v36, -0.5, v27
	v_mul_f16_e32 v35, 0xbaee, v35
	v_add_f16_e32 v40, v4, v39
	v_sub_f16_e32 v4, v4, v39
	v_add_f16_e32 v12, v7, v13
	v_fma_f16 v36, v10, s5, v36
	v_add_f16_e32 v39, v19, v30
	v_fma_f16 v18, v18, 0.5, v35
	v_mul_f16_e32 v10, -0.5, v10
	v_add_f16_e32 v31, v33, v29
	v_add_f16_e32 v35, v16, v18
	v_fma_f16 v10, v27, s4, v10
	v_pack_b32_f16 v8, v8, v41
	v_pack_b32_f16 v4, v4, v6
	;; [unrolled: 1-line block ×3, first 2 shown]
	v_add_f16_e32 v37, v14, v36
	v_add_f16_e32 v27, v11, v10
	v_sub_f16_e32 v10, v11, v10
	v_pack_b32_f16 v11, v28, v38
	ds_write2_b32 v22, v8, v6 offset1:102
	v_pack_b32_f16 v6, v31, v35
	v_sub_f16_e32 v7, v7, v13
	v_sub_f16_e32 v19, v19, v30
	;; [unrolled: 1-line block ×3, first 2 shown]
	v_pack_b32_f16 v18, v40, v34
	ds_write2_b32 v23, v11, v6 offset0:76 offset1:178
	v_pack_b32_f16 v6, v37, v27
	v_sub_f16_e32 v13, v33, v29
	v_pack_b32_f16 v9, v9, v32
	ds_write2_b32 v24, v18, v6 offset0:152 offset1:254
	v_pack_b32_f16 v6, v7, v19
	v_sub_f16_e32 v14, v14, v36
	v_pack_b32_f16 v15, v17, v15
	ds_write2_b32 v25, v9, v6 offset0:100 offset1:202
	v_pack_b32_f16 v6, v13, v16
	ds_write2_b32 v26, v15, v6 offset0:48 offset1:150
	v_pack_b32_f16 v6, v14, v10
	v_add_u32_e32 v7, 0xe00, v22
	ds_write2_b32 v7, v4, v6 offset0:124 offset1:226
	s_waitcnt lgkmcnt(0)
	s_barrier
	ds_read_b32 v4, v20
	v_sub_u32_e32 v8, v1, v21
                                        ; implicit-def: $vgpr10
                                        ; implicit-def: $vgpr9
                                        ; implicit-def: $vgpr11
                                        ; implicit-def: $vgpr6_vgpr7
	s_and_saveexec_b64 s[4:5], vcc
	s_xor_b64 s[4:5], exec, s[4:5]
	s_cbranch_execz .LBB0_15
; %bb.14:
	v_mov_b32_e32 v1, v5
	v_lshlrev_b64 v[5:6], 2, v[0:1]
	v_mov_b32_e32 v7, s8
	v_add_co_u32_e32 v5, vcc, s7, v5
	v_addc_co_u32_e32 v6, vcc, v7, v6, vcc
	global_load_dword v5, v[5:6], off
	ds_read_b32 v6, v8 offset:4896
	s_waitcnt lgkmcnt(0)
	v_pk_add_f16 v7, v4, v6 neg_lo:[0,1] neg_hi:[0,1]
	v_pk_add_f16 v4, v6, v4
	v_bfi_b32 v6, s6, v7, v4
	v_bfi_b32 v4, s6, v4, v7
	v_pk_mul_f16 v6, v6, 0.5 op_sel_hi:[1,0]
	v_pk_mul_f16 v7, v4, 0.5 op_sel_hi:[1,0]
	s_waitcnt vmcnt(0)
	v_pk_mul_f16 v9, v5, v6 op_sel:[1,0]
	v_pk_mul_f16 v5, v5, v6 op_sel_hi:[0,1]
	v_pk_fma_f16 v4, v4, 0.5, v9 op_sel_hi:[1,0,1]
	v_sub_f16_e32 v6, v7, v9
	v_sub_f16_sdwa v7, v9, v7 dst_sel:DWORD dst_unused:UNUSED_PAD src0_sel:WORD_1 src1_sel:WORD_1
	v_pk_add_f16 v10, v4, v5 op_sel:[0,1] op_sel_hi:[1,0]
	v_pk_add_f16 v4, v4, v5 op_sel:[0,1] op_sel_hi:[1,0] neg_lo:[0,1] neg_hi:[0,1]
	v_sub_f16_sdwa v9, v6, v5 dst_sel:DWORD dst_unused:UNUSED_PAD src0_sel:DWORD src1_sel:WORD_1
	v_sub_f16_e32 v11, v7, v5
	v_mov_b32_e32 v7, v1
	v_bfi_b32 v10, s6, v10, v4
	v_mov_b32_e32 v6, v0
                                        ; implicit-def: $vgpr4
                                        ; implicit-def: $vgpr1
.LBB0_15:
	s_andn2_saveexec_b64 s[4:5], s[4:5]
	s_cbranch_execz .LBB0_17
; %bb.16:
	ds_read_u16 v5, v1 offset:2450
	s_waitcnt lgkmcnt(1)
	v_alignbit_b32 v6, s0, v4, 16
	v_sub_f16_sdwa v9, v4, v4 dst_sel:DWORD dst_unused:UNUSED_PAD src0_sel:DWORD src1_sel:WORD_1
	v_pk_add_f16 v4, v6, v4
	v_mov_b32_e32 v6, 0
	v_pack_b32_f16 v10, v4, 0
	s_waitcnt lgkmcnt(0)
	v_xor_b32_e32 v4, 0x8000, v5
	v_mov_b32_e32 v7, 0
	v_mov_b32_e32 v11, 0
	ds_write_b16 v1, v4 offset:2450
.LBB0_17:
	s_or_b64 exec, exec, s[4:5]
	s_waitcnt lgkmcnt(0)
	v_lshlrev_b64 v[4:5], 2, v[6:7]
	v_mov_b32_e32 v1, s8
	v_add_co_u32_e32 v6, vcc, s7, v4
	v_addc_co_u32_e32 v7, vcc, v1, v5, vcc
	global_load_dword v1, v[6:7], off offset:408
	global_load_dword v12, v[6:7], off offset:816
	;; [unrolled: 1-line block ×3, first 2 shown]
	ds_write_b16 v8, v11 offset:4898
	ds_write_b32 v20, v10
	ds_write_b16 v8, v9 offset:4896
	ds_read_b32 v9, v20 offset:408
	ds_read_b32 v10, v8 offset:4488
	global_load_dword v11, v[6:7], off offset:1632
	global_load_dword v14, v[6:7], off offset:2040
	s_mov_b32 s4, 0xffff
	s_waitcnt lgkmcnt(0)
	v_pk_add_f16 v6, v9, v10 neg_lo:[0,1] neg_hi:[0,1]
	v_pk_add_f16 v7, v9, v10
	v_bfi_b32 v9, s4, v6, v7
	v_bfi_b32 v6, s4, v7, v6
	v_pk_mul_f16 v7, v9, 0.5 op_sel_hi:[1,0]
	v_pk_mul_f16 v6, v6, 0.5 op_sel_hi:[1,0]
	s_waitcnt vmcnt(4)
	v_pk_fma_f16 v9, v1, v7, v6 op_sel:[1,0,0]
	v_pk_mul_f16 v10, v1, v7 op_sel_hi:[0,1]
	v_pk_fma_f16 v15, v1, v7, v6 op_sel:[1,0,0] neg_lo:[1,0,0] neg_hi:[1,0,0]
	v_pk_fma_f16 v1, v1, v7, v6 op_sel:[1,0,0] neg_lo:[0,0,1] neg_hi:[0,0,1]
	v_pk_add_f16 v6, v9, v10 op_sel:[0,1] op_sel_hi:[1,0]
	v_pk_add_f16 v7, v9, v10 op_sel:[0,1] op_sel_hi:[1,0] neg_lo:[0,1] neg_hi:[0,1]
	v_pk_add_f16 v9, v15, v10 op_sel:[0,1] op_sel_hi:[1,0] neg_lo:[0,1] neg_hi:[0,1]
	;; [unrolled: 1-line block ×3, first 2 shown]
	v_bfi_b32 v6, s4, v6, v7
	v_bfi_b32 v1, s4, v9, v1
	ds_write_b32 v20, v6 offset:408
	ds_write_b32 v8, v1 offset:4488
	ds_read_b32 v1, v20 offset:816
	ds_read_b32 v6, v8 offset:4080
	s_waitcnt lgkmcnt(0)
	v_pk_add_f16 v7, v1, v6 neg_lo:[0,1] neg_hi:[0,1]
	v_pk_add_f16 v1, v1, v6
	v_bfi_b32 v6, s4, v7, v1
	v_bfi_b32 v1, s4, v1, v7
	v_pk_mul_f16 v6, v6, 0.5 op_sel_hi:[1,0]
	v_pk_mul_f16 v7, v1, 0.5 op_sel_hi:[1,0]
	s_waitcnt vmcnt(3)
	v_pk_mul_f16 v9, v12, v6 op_sel:[1,0]
	v_pk_mul_f16 v6, v12, v6 op_sel_hi:[0,1]
	v_pk_fma_f16 v1, v1, 0.5, v9 op_sel_hi:[1,0,1]
	v_sub_f16_e32 v10, v7, v9
	v_sub_f16_sdwa v7, v9, v7 dst_sel:DWORD dst_unused:UNUSED_PAD src0_sel:WORD_1 src1_sel:WORD_1
	v_pk_add_f16 v9, v1, v6 op_sel:[0,1] op_sel_hi:[1,0]
	v_pk_add_f16 v1, v1, v6 op_sel:[0,1] op_sel_hi:[1,0] neg_lo:[0,1] neg_hi:[0,1]
	v_sub_f16_sdwa v10, v10, v6 dst_sel:DWORD dst_unused:UNUSED_PAD src0_sel:DWORD src1_sel:WORD_1
	v_sub_f16_e32 v6, v7, v6
	v_bfi_b32 v1, s4, v9, v1
	ds_write_b16 v8, v6 offset:4082
	ds_write_b32 v20, v1 offset:816
	ds_write_b16 v8, v10 offset:4080
	ds_read_b32 v1, v20 offset:1224
	ds_read_b32 v6, v8 offset:3672
	s_waitcnt lgkmcnt(0)
	v_pk_add_f16 v7, v1, v6 neg_lo:[0,1] neg_hi:[0,1]
	v_pk_add_f16 v1, v1, v6
	v_bfi_b32 v6, s4, v7, v1
	v_bfi_b32 v1, s4, v1, v7
	v_pk_mul_f16 v6, v6, 0.5 op_sel_hi:[1,0]
	v_pk_mul_f16 v7, v1, 0.5 op_sel_hi:[1,0]
	s_waitcnt vmcnt(2)
	v_pk_mul_f16 v9, v13, v6 op_sel:[1,0]
	v_pk_mul_f16 v6, v13, v6 op_sel_hi:[0,1]
	v_pk_fma_f16 v1, v1, 0.5, v9 op_sel_hi:[1,0,1]
	v_sub_f16_e32 v10, v7, v9
	v_sub_f16_sdwa v7, v9, v7 dst_sel:DWORD dst_unused:UNUSED_PAD src0_sel:WORD_1 src1_sel:WORD_1
	v_pk_add_f16 v9, v1, v6 op_sel:[0,1] op_sel_hi:[1,0]
	v_pk_add_f16 v1, v1, v6 op_sel:[0,1] op_sel_hi:[1,0] neg_lo:[0,1] neg_hi:[0,1]
	v_sub_f16_sdwa v10, v10, v6 dst_sel:DWORD dst_unused:UNUSED_PAD src0_sel:DWORD src1_sel:WORD_1
	v_sub_f16_e32 v6, v7, v6
	v_bfi_b32 v1, s4, v9, v1
	ds_write_b16 v8, v6 offset:3674
	ds_write_b32 v20, v1 offset:1224
	ds_write_b16 v8, v10 offset:3672
	;; [unrolled: 23-line block ×3, first 2 shown]
	ds_read_b32 v1, v20 offset:2040
	ds_read_b32 v6, v8 offset:2856
	s_waitcnt lgkmcnt(0)
	v_pk_add_f16 v7, v1, v6 neg_lo:[0,1] neg_hi:[0,1]
	v_pk_add_f16 v1, v1, v6
	v_bfi_b32 v6, s4, v7, v1
	v_bfi_b32 v1, s4, v1, v7
	v_pk_mul_f16 v6, v6, 0.5 op_sel_hi:[1,0]
	v_pk_mul_f16 v1, v1, 0.5 op_sel_hi:[1,0]
	s_waitcnt vmcnt(0)
	v_pk_fma_f16 v7, v14, v6, v1 op_sel:[1,0,0]
	v_pk_mul_f16 v9, v14, v6 op_sel_hi:[0,1]
	v_pk_fma_f16 v10, v14, v6, v1 op_sel:[1,0,0] neg_lo:[1,0,0] neg_hi:[1,0,0]
	v_pk_fma_f16 v1, v14, v6, v1 op_sel:[1,0,0] neg_lo:[0,0,1] neg_hi:[0,0,1]
	v_pk_add_f16 v6, v7, v9 op_sel:[0,1] op_sel_hi:[1,0]
	v_pk_add_f16 v7, v7, v9 op_sel:[0,1] op_sel_hi:[1,0] neg_lo:[0,1] neg_hi:[0,1]
	v_pk_add_f16 v10, v10, v9 op_sel:[0,1] op_sel_hi:[1,0] neg_lo:[0,1] neg_hi:[0,1]
	;; [unrolled: 1-line block ×3, first 2 shown]
	v_bfi_b32 v6, s4, v6, v7
	v_bfi_b32 v1, s4, v10, v1
	ds_write_b32 v20, v6 offset:2040
	ds_write_b32 v8, v1 offset:2856
	s_waitcnt lgkmcnt(0)
	s_barrier
	s_and_saveexec_b64 s[4:5], s[0:1]
	s_cbranch_execz .LBB0_20
; %bb.18:
	v_mov_b32_e32 v1, s3
	v_add_co_u32_e32 v2, vcc, s2, v2
	v_addc_co_u32_e32 v1, vcc, v1, v3, vcc
	ds_read2_b32 v[6:7], v20 offset1:102
	v_add_co_u32_e32 v3, vcc, v2, v4
	v_addc_co_u32_e32 v4, vcc, v1, v5, vcc
	v_add_u32_e32 v5, 0x200, v20
	ds_read2_b32 v[8:9], v5 offset0:76 offset1:178
	v_add_u32_e32 v5, 0x400, v20
	ds_read2_b32 v[10:11], v5 offset0:152 offset1:254
	s_waitcnt lgkmcnt(2)
	global_store_dword v[3:4], v6, off
	global_store_dword v[3:4], v7, off offset:408
	s_waitcnt lgkmcnt(1)
	global_store_dword v[3:4], v8, off offset:816
	global_store_dword v[3:4], v9, off offset:1224
	s_waitcnt lgkmcnt(0)
	global_store_dword v[3:4], v10, off offset:1632
	global_store_dword v[3:4], v11, off offset:2040
	v_add_u32_e32 v5, 0x800, v20
	ds_read2_b32 v[5:6], v5 offset0:100 offset1:202
	v_add_u32_e32 v7, 0xc00, v20
	ds_read2_b32 v[7:8], v7 offset0:48 offset1:150
	;; [unrolled: 2-line block ×3, first 2 shown]
	s_waitcnt lgkmcnt(2)
	global_store_dword v[3:4], v5, off offset:2448
	global_store_dword v[3:4], v6, off offset:2856
	s_waitcnt lgkmcnt(1)
	global_store_dword v[3:4], v7, off offset:3264
	global_store_dword v[3:4], v8, off offset:3672
	s_waitcnt lgkmcnt(0)
	global_store_dword v[3:4], v9, off offset:4080
	v_add_co_u32_e32 v3, vcc, 0x1000, v3
	v_addc_co_u32_e32 v4, vcc, 0, v4, vcc
	s_movk_i32 s0, 0x65
	v_cmp_eq_u32_e32 vcc, s0, v0
	global_store_dword v[3:4], v10, off offset:392
	s_and_b64 exec, exec, vcc
	s_cbranch_execz .LBB0_20
; %bb.19:
	ds_read_b32 v3, v20 offset:4492
	v_add_co_u32_e32 v0, vcc, 0x1000, v2
	v_addc_co_u32_e32 v1, vcc, 0, v1, vcc
	s_waitcnt lgkmcnt(0)
	global_store_dword v[0:1], v3, off offset:800
.LBB0_20:
	s_endpgm
	.section	.rodata,"a",@progbits
	.p2align	6, 0x0
	.amdhsa_kernel fft_rtc_fwd_len1224_factors_17_3_4_6_wgs_204_tpt_102_halfLds_half_ip_CI_unitstride_sbrr_R2C_dirReg
		.amdhsa_group_segment_fixed_size 0
		.amdhsa_private_segment_fixed_size 0
		.amdhsa_kernarg_size 88
		.amdhsa_user_sgpr_count 6
		.amdhsa_user_sgpr_private_segment_buffer 1
		.amdhsa_user_sgpr_dispatch_ptr 0
		.amdhsa_user_sgpr_queue_ptr 0
		.amdhsa_user_sgpr_kernarg_segment_ptr 1
		.amdhsa_user_sgpr_dispatch_id 0
		.amdhsa_user_sgpr_flat_scratch_init 0
		.amdhsa_user_sgpr_private_segment_size 0
		.amdhsa_uses_dynamic_stack 0
		.amdhsa_system_sgpr_private_segment_wavefront_offset 0
		.amdhsa_system_sgpr_workgroup_id_x 1
		.amdhsa_system_sgpr_workgroup_id_y 0
		.amdhsa_system_sgpr_workgroup_id_z 0
		.amdhsa_system_sgpr_workgroup_info 0
		.amdhsa_system_vgpr_workitem_id 0
		.amdhsa_next_free_vgpr 155
		.amdhsa_next_free_sgpr 35
		.amdhsa_reserve_vcc 1
		.amdhsa_reserve_flat_scratch 0
		.amdhsa_float_round_mode_32 0
		.amdhsa_float_round_mode_16_64 0
		.amdhsa_float_denorm_mode_32 3
		.amdhsa_float_denorm_mode_16_64 3
		.amdhsa_dx10_clamp 1
		.amdhsa_ieee_mode 1
		.amdhsa_fp16_overflow 0
		.amdhsa_exception_fp_ieee_invalid_op 0
		.amdhsa_exception_fp_denorm_src 0
		.amdhsa_exception_fp_ieee_div_zero 0
		.amdhsa_exception_fp_ieee_overflow 0
		.amdhsa_exception_fp_ieee_underflow 0
		.amdhsa_exception_fp_ieee_inexact 0
		.amdhsa_exception_int_div_zero 0
	.end_amdhsa_kernel
	.text
.Lfunc_end0:
	.size	fft_rtc_fwd_len1224_factors_17_3_4_6_wgs_204_tpt_102_halfLds_half_ip_CI_unitstride_sbrr_R2C_dirReg, .Lfunc_end0-fft_rtc_fwd_len1224_factors_17_3_4_6_wgs_204_tpt_102_halfLds_half_ip_CI_unitstride_sbrr_R2C_dirReg
                                        ; -- End function
	.section	.AMDGPU.csdata,"",@progbits
; Kernel info:
; codeLenInByte = 11260
; NumSgprs: 39
; NumVgprs: 155
; ScratchSize: 0
; MemoryBound: 0
; FloatMode: 240
; IeeeMode: 1
; LDSByteSize: 0 bytes/workgroup (compile time only)
; SGPRBlocks: 4
; VGPRBlocks: 38
; NumSGPRsForWavesPerEU: 39
; NumVGPRsForWavesPerEU: 155
; Occupancy: 1
; WaveLimiterHint : 1
; COMPUTE_PGM_RSRC2:SCRATCH_EN: 0
; COMPUTE_PGM_RSRC2:USER_SGPR: 6
; COMPUTE_PGM_RSRC2:TRAP_HANDLER: 0
; COMPUTE_PGM_RSRC2:TGID_X_EN: 1
; COMPUTE_PGM_RSRC2:TGID_Y_EN: 0
; COMPUTE_PGM_RSRC2:TGID_Z_EN: 0
; COMPUTE_PGM_RSRC2:TIDIG_COMP_CNT: 0
	.type	__hip_cuid_fe67cb9d284c4a84,@object ; @__hip_cuid_fe67cb9d284c4a84
	.section	.bss,"aw",@nobits
	.globl	__hip_cuid_fe67cb9d284c4a84
__hip_cuid_fe67cb9d284c4a84:
	.byte	0                               ; 0x0
	.size	__hip_cuid_fe67cb9d284c4a84, 1

	.ident	"AMD clang version 19.0.0git (https://github.com/RadeonOpenCompute/llvm-project roc-6.4.0 25133 c7fe45cf4b819c5991fe208aaa96edf142730f1d)"
	.section	".note.GNU-stack","",@progbits
	.addrsig
	.addrsig_sym __hip_cuid_fe67cb9d284c4a84
	.amdgpu_metadata
---
amdhsa.kernels:
  - .args:
      - .actual_access:  read_only
        .address_space:  global
        .offset:         0
        .size:           8
        .value_kind:     global_buffer
      - .offset:         8
        .size:           8
        .value_kind:     by_value
      - .actual_access:  read_only
        .address_space:  global
        .offset:         16
        .size:           8
        .value_kind:     global_buffer
      - .actual_access:  read_only
        .address_space:  global
        .offset:         24
        .size:           8
        .value_kind:     global_buffer
      - .offset:         32
        .size:           8
        .value_kind:     by_value
      - .actual_access:  read_only
        .address_space:  global
        .offset:         40
        .size:           8
        .value_kind:     global_buffer
      - .actual_access:  read_only
        .address_space:  global
        .offset:         48
        .size:           8
        .value_kind:     global_buffer
      - .offset:         56
        .size:           4
        .value_kind:     by_value
      - .actual_access:  read_only
        .address_space:  global
        .offset:         64
        .size:           8
        .value_kind:     global_buffer
      - .actual_access:  read_only
        .address_space:  global
        .offset:         72
        .size:           8
        .value_kind:     global_buffer
      - .address_space:  global
        .offset:         80
        .size:           8
        .value_kind:     global_buffer
    .group_segment_fixed_size: 0
    .kernarg_segment_align: 8
    .kernarg_segment_size: 88
    .language:       OpenCL C
    .language_version:
      - 2
      - 0
    .max_flat_workgroup_size: 204
    .name:           fft_rtc_fwd_len1224_factors_17_3_4_6_wgs_204_tpt_102_halfLds_half_ip_CI_unitstride_sbrr_R2C_dirReg
    .private_segment_fixed_size: 0
    .sgpr_count:     39
    .sgpr_spill_count: 0
    .symbol:         fft_rtc_fwd_len1224_factors_17_3_4_6_wgs_204_tpt_102_halfLds_half_ip_CI_unitstride_sbrr_R2C_dirReg.kd
    .uniform_work_group_size: 1
    .uses_dynamic_stack: false
    .vgpr_count:     155
    .vgpr_spill_count: 0
    .wavefront_size: 64
amdhsa.target:   amdgcn-amd-amdhsa--gfx906
amdhsa.version:
  - 1
  - 2
...

	.end_amdgpu_metadata
